;; amdgpu-corpus repo=ROCm/rocFFT kind=compiled arch=gfx906 opt=O3
	.text
	.amdgcn_target "amdgcn-amd-amdhsa--gfx906"
	.amdhsa_code_object_version 6
	.protected	bluestein_single_back_len1859_dim1_dp_op_CI_CI ; -- Begin function bluestein_single_back_len1859_dim1_dp_op_CI_CI
	.globl	bluestein_single_back_len1859_dim1_dp_op_CI_CI
	.p2align	8
	.type	bluestein_single_back_len1859_dim1_dp_op_CI_CI,@function
bluestein_single_back_len1859_dim1_dp_op_CI_CI: ; @bluestein_single_back_len1859_dim1_dp_op_CI_CI
; %bb.0:
	s_mov_b64 s[54:55], s[2:3]
	s_mov_b64 s[52:53], s[0:1]
	v_mul_u32_u24_e32 v1, 0x184, v0
	s_add_u32 s52, s52, s7
	v_add_u32_sdwa v3, s6, v1 dst_sel:DWORD dst_unused:UNUSED_PAD src0_sel:DWORD src1_sel:WORD_1
	s_addc_u32 s53, s53, 0
	v_mov_b32_e32 v2, v3
	buffer_store_dword v2, off, s[52:55], 0 ; 4-byte Folded Spill
	s_nop 0
	buffer_store_dword v3, off, s[52:55], 0 offset:4 ; 4-byte Folded Spill
	s_load_dwordx4 s[0:3], s[4:5], 0x28
	v_mov_b32_e32 v4, 0
	s_waitcnt lgkmcnt(0)
	v_cmp_gt_u64_e32 vcc, s[0:1], v[3:4]
	s_and_saveexec_b64 s[0:1], vcc
	s_cbranch_execz .LBB0_23
; %bb.1:
	s_load_dwordx2 s[14:15], s[4:5], 0x0
	s_load_dwordx2 s[12:13], s[4:5], 0x38
	s_movk_i32 s0, 0xa9
	v_mul_lo_u16_sdwa v1, v1, s0 dst_sel:DWORD dst_unused:UNUSED_PAD src0_sel:WORD_1 src1_sel:DWORD
	v_sub_u16_e32 v203, v0, v1
	s_movk_i32 s0, 0x8f
	v_cmp_gt_u16_e64 s[0:1], s0, v203
	v_lshlrev_b32_e32 v255, 4, v203
	s_and_saveexec_b64 s[6:7], s[0:1]
	s_cbranch_execz .LBB0_3
; %bb.2:
	s_load_dwordx2 s[8:9], s[4:5], 0x18
	s_waitcnt lgkmcnt(0)
	s_load_dwordx4 s[8:11], s[8:9], 0x0
	buffer_load_dword v0, off, s[52:55], 0  ; 4-byte Folded Reload
	buffer_load_dword v1, off, s[52:55], 0 offset:4 ; 4-byte Folded Reload
	s_waitcnt lgkmcnt(0)
	v_mad_u64_u32 v[2:3], s[16:17], s8, v203, 0
	s_waitcnt vmcnt(1)
	v_mov_b32_e32 v4, v0
	s_waitcnt vmcnt(0)
	v_mad_u64_u32 v[0:1], s[16:17], s10, v4, 0
	v_mad_u64_u32 v[4:5], s[10:11], s11, v4, v[1:2]
	;; [unrolled: 1-line block ×3, first 2 shown]
	v_mov_b32_e32 v1, v4
	v_lshlrev_b64 v[0:1], 4, v[0:1]
	v_mov_b32_e32 v3, v5
	v_mov_b32_e32 v6, s3
	v_lshlrev_b64 v[2:3], 4, v[2:3]
	v_add_co_u32_e32 v0, vcc, s2, v0
	v_addc_co_u32_e32 v1, vcc, v6, v1, vcc
	v_add_co_u32_e32 v16, vcc, v0, v2
	v_addc_co_u32_e32 v17, vcc, v1, v3, vcc
	v_mov_b32_e32 v0, s15
	v_add_co_u32_e32 v94, vcc, s14, v255
	s_mul_i32 s2, s9, 0x8f0
	s_mul_hi_u32 s3, s8, 0x8f0
	v_addc_co_u32_e32 v95, vcc, 0, v0, vcc
	s_add_i32 s2, s3, s2
	s_mul_i32 s3, s8, 0x8f0
	v_mov_b32_e32 v0, s2
	v_add_co_u32_e32 v18, vcc, s3, v16
	v_addc_co_u32_e32 v19, vcc, v17, v0, vcc
	global_load_dwordx4 v[0:3], v[16:17], off
	global_load_dwordx4 v[4:7], v[18:19], off
	global_load_dwordx4 v[8:11], v255, s[14:15]
	global_load_dwordx4 v[12:15], v255, s[14:15] offset:2288
	v_mov_b32_e32 v16, s2
	v_add_co_u32_e32 v20, vcc, s3, v18
	v_addc_co_u32_e32 v21, vcc, v19, v16, vcc
	s_movk_i32 s8, 0x1000
	v_add_co_u32_e32 v28, vcc, s8, v94
	v_addc_co_u32_e32 v29, vcc, 0, v95, vcc
	v_mov_b32_e32 v22, s2
	v_add_co_u32_e32 v36, vcc, s3, v20
	v_addc_co_u32_e32 v37, vcc, v21, v22, vcc
	global_load_dwordx4 v[16:19], v[20:21], off
	s_nop 0
	global_load_dwordx4 v[20:23], v[28:29], off offset:480
	global_load_dwordx4 v[24:27], v[28:29], off offset:2768
	v_mov_b32_e32 v28, s2
	v_add_co_u32_e32 v38, vcc, s3, v36
	v_addc_co_u32_e32 v39, vcc, v37, v28, vcc
	s_movk_i32 s8, 0x2000
	v_add_co_u32_e32 v48, vcc, s8, v94
	v_addc_co_u32_e32 v49, vcc, 0, v95, vcc
	global_load_dwordx4 v[28:31], v[36:37], off
	global_load_dwordx4 v[32:35], v[38:39], off
	v_mov_b32_e32 v36, s2
	v_add_co_u32_e32 v50, vcc, s3, v38
	v_addc_co_u32_e32 v51, vcc, v39, v36, vcc
	global_load_dwordx4 v[36:39], v[50:51], off
	global_load_dwordx4 v[40:43], v[48:49], off offset:960
	global_load_dwordx4 v[44:47], v[48:49], off offset:3248
	v_mov_b32_e32 v48, s2
	v_add_co_u32_e32 v52, vcc, s3, v50
	v_addc_co_u32_e32 v53, vcc, v51, v48, vcc
	s_movk_i32 s8, 0x3000
	v_add_co_u32_e32 v64, vcc, s8, v94
	v_addc_co_u32_e32 v65, vcc, 0, v95, vcc
	v_mov_b32_e32 v54, s2
	v_add_co_u32_e32 v66, vcc, s3, v52
	v_addc_co_u32_e32 v67, vcc, v53, v54, vcc
	global_load_dwordx4 v[48:51], v[52:53], off
	s_nop 0
	global_load_dwordx4 v[52:55], v[66:67], off
	global_load_dwordx4 v[56:59], v[64:65], off offset:1440
	global_load_dwordx4 v[60:63], v[64:65], off offset:3728
	v_mov_b32_e32 v64, s2
	v_add_co_u32_e32 v72, vcc, s3, v66
	v_addc_co_u32_e32 v73, vcc, v67, v64, vcc
	s_movk_i32 s8, 0x4000
	v_add_co_u32_e32 v68, vcc, s8, v94
	v_addc_co_u32_e32 v69, vcc, 0, v95, vcc
	v_mov_b32_e32 v74, s2
	v_add_co_u32_e32 v76, vcc, s3, v72
	v_addc_co_u32_e32 v77, vcc, v73, v74, vcc
	s_movk_i32 s8, 0x5000
	v_add_co_u32_e32 v88, vcc, s8, v94
	v_addc_co_u32_e32 v89, vcc, 0, v95, vcc
	v_mov_b32_e32 v78, s2
	v_add_co_u32_e32 v90, vcc, s3, v76
	v_addc_co_u32_e32 v91, vcc, v77, v78, vcc
	global_load_dwordx4 v[64:67], v[72:73], off
	v_add_co_u32_e32 v92, vcc, s3, v90
	global_load_dwordx4 v[68:71], v[68:69], off offset:1920
	s_movk_i32 s8, 0x6000
	global_load_dwordx4 v[72:75], v[76:77], off
	s_nop 0
	global_load_dwordx4 v[76:79], v[90:91], off
	global_load_dwordx4 v[80:83], v[88:89], off offset:112
	global_load_dwordx4 v[84:87], v[88:89], off offset:2400
	v_mov_b32_e32 v88, s2
	v_addc_co_u32_e32 v93, vcc, v91, v88, vcc
	v_add_co_u32_e32 v104, vcc, s8, v94
	v_addc_co_u32_e32 v105, vcc, 0, v95, vcc
	global_load_dwordx4 v[88:91], v[92:93], off
	v_mov_b32_e32 v94, s2
	v_add_co_u32_e32 v106, vcc, s3, v92
	v_addc_co_u32_e32 v107, vcc, v93, v94, vcc
	global_load_dwordx4 v[92:95], v[104:105], off offset:592
	global_load_dwordx4 v[96:99], v[106:107], off
	global_load_dwordx4 v[100:103], v[104:105], off offset:2880
	s_waitcnt vmcnt(23)
	v_mul_f64 v[104:105], v[2:3], v[10:11]
	v_mul_f64 v[10:11], v[0:1], v[10:11]
	v_fma_f64 v[0:1], v[0:1], v[8:9], v[104:105]
	v_fma_f64 v[2:3], v[2:3], v[8:9], -v[10:11]
	s_waitcnt vmcnt(22)
	v_mul_f64 v[8:9], v[6:7], v[14:15]
	v_mul_f64 v[10:11], v[4:5], v[14:15]
	s_waitcnt vmcnt(20)
	v_mul_f64 v[14:15], v[18:19], v[22:23]
	v_mul_f64 v[22:23], v[16:17], v[22:23]
	;; [unrolled: 3-line block ×4, first 2 shown]
	v_fma_f64 v[4:5], v[4:5], v[12:13], v[8:9]
	v_fma_f64 v[6:7], v[6:7], v[12:13], -v[10:11]
	v_fma_f64 v[8:9], v[16:17], v[20:21], v[14:15]
	v_fma_f64 v[10:11], v[18:19], v[20:21], -v[22:23]
	;; [unrolled: 2-line block ×4, first 2 shown]
	ds_write_b128 v255, v[0:3]
	ds_write_b128 v255, v[4:7] offset:2288
	ds_write_b128 v255, v[8:11] offset:4576
	;; [unrolled: 1-line block ×4, first 2 shown]
	s_waitcnt vmcnt(14)
	v_mul_f64 v[0:1], v[38:39], v[46:47]
	v_mul_f64 v[2:3], v[36:37], v[46:47]
	s_waitcnt vmcnt(11)
	v_mul_f64 v[4:5], v[50:51], v[58:59]
	v_mul_f64 v[6:7], v[48:49], v[58:59]
	;; [unrolled: 3-line block ×3, first 2 shown]
	v_fma_f64 v[0:1], v[36:37], v[44:45], v[0:1]
	v_fma_f64 v[2:3], v[38:39], v[44:45], -v[2:3]
	v_fma_f64 v[4:5], v[48:49], v[56:57], v[4:5]
	v_fma_f64 v[6:7], v[50:51], v[56:57], -v[6:7]
	;; [unrolled: 2-line block ×3, first 2 shown]
	s_waitcnt vmcnt(8)
	v_mul_f64 v[12:13], v[66:67], v[70:71]
	v_mul_f64 v[14:15], v[64:65], v[70:71]
	s_waitcnt vmcnt(5)
	v_mul_f64 v[16:17], v[74:75], v[82:83]
	v_mul_f64 v[18:19], v[72:73], v[82:83]
	;; [unrolled: 3-line block ×3, first 2 shown]
	v_fma_f64 v[12:13], v[64:65], v[68:69], v[12:13]
	v_fma_f64 v[14:15], v[66:67], v[68:69], -v[14:15]
	v_fma_f64 v[16:17], v[72:73], v[80:81], v[16:17]
	v_fma_f64 v[18:19], v[74:75], v[80:81], -v[18:19]
	;; [unrolled: 2-line block ×3, first 2 shown]
	s_waitcnt vmcnt(2)
	v_mul_f64 v[24:25], v[90:91], v[94:95]
	v_mul_f64 v[26:27], v[88:89], v[94:95]
	s_waitcnt vmcnt(0)
	v_mul_f64 v[28:29], v[98:99], v[102:103]
	v_mul_f64 v[30:31], v[96:97], v[102:103]
	v_fma_f64 v[24:25], v[88:89], v[92:93], v[24:25]
	v_fma_f64 v[26:27], v[90:91], v[92:93], -v[26:27]
	v_fma_f64 v[28:29], v[96:97], v[100:101], v[28:29]
	v_fma_f64 v[30:31], v[98:99], v[100:101], -v[30:31]
	ds_write_b128 v255, v[0:3] offset:11440
	ds_write_b128 v255, v[4:7] offset:13728
	;; [unrolled: 1-line block ×8, first 2 shown]
.LBB0_3:
	s_or_b64 exec, exec, s[6:7]
	s_load_dwordx2 s[6:7], s[4:5], 0x20
	s_load_dwordx2 s[2:3], s[4:5], 0x8
	s_waitcnt vmcnt(0) lgkmcnt(0)
	s_barrier
	s_waitcnt lgkmcnt(0)
                                        ; implicit-def: $vgpr0_vgpr1
                                        ; implicit-def: $vgpr4_vgpr5
                                        ; implicit-def: $vgpr8_vgpr9
                                        ; implicit-def: $vgpr12_vgpr13
                                        ; implicit-def: $vgpr16_vgpr17
                                        ; implicit-def: $vgpr20_vgpr21
                                        ; implicit-def: $vgpr24_vgpr25
                                        ; implicit-def: $vgpr28_vgpr29
                                        ; implicit-def: $vgpr32_vgpr33
                                        ; implicit-def: $vgpr36_vgpr37
                                        ; implicit-def: $vgpr40_vgpr41
                                        ; implicit-def: $vgpr44_vgpr45
                                        ; implicit-def: $vgpr48_vgpr49
	s_and_saveexec_b64 s[4:5], s[0:1]
	s_cbranch_execz .LBB0_5
; %bb.4:
	ds_read_b128 v[0:3], v255
	ds_read_b128 v[4:7], v255 offset:2288
	ds_read_b128 v[8:11], v255 offset:4576
	;; [unrolled: 1-line block ×12, first 2 shown]
.LBB0_5:
	s_or_b64 exec, exec, s[4:5]
	s_waitcnt lgkmcnt(0)
	v_add_f64 v[100:101], v[6:7], -v[50:51]
	s_mov_b32 s22, 0x4267c47c
	s_mov_b32 s23, 0xbfddbe06
	v_add_f64 v[56:57], v[4:5], v[48:49]
	v_add_f64 v[108:109], v[10:11], -v[46:47]
	s_mov_b32 s4, 0xe00740e9
	s_mov_b32 s10, 0x42a4c3d2
	s_mov_b32 s5, 0x3fec55a7
	v_mul_f64 v[58:59], v[100:101], s[22:23]
	s_mov_b32 s11, 0xbfea55e2
	v_add_f64 v[66:67], v[8:9], v[44:45]
	s_mov_b32 s8, 0x1ea71119
	v_mul_f64 v[60:61], v[108:109], s[10:11]
	s_mov_b32 s9, 0x3fe22d96
	v_add_f64 v[124:125], v[14:15], -v[42:43]
	s_mov_b32 s26, 0x66966769
	v_fma_f64 v[52:53], v[56:57], s[4:5], v[58:59]
	s_mov_b32 s27, 0xbfefc445
	v_add_f64 v[82:83], v[4:5], -v[48:49]
	v_add_f64 v[72:73], v[12:13], v[40:41]
	v_fma_f64 v[68:69], v[66:67], s[8:9], v[60:61]
	v_add_f64 v[144:145], v[18:19], -v[38:39]
	s_mov_b32 s34, 0x2ef20147
	s_mov_b32 s18, 0xebaa3ed8
	v_add_f64 v[52:53], v[0:1], v[52:53]
	s_mov_b32 s35, 0xbfedeba7
	s_mov_b32 s19, 0x3fbedb7d
	v_add_f64 v[104:105], v[6:7], v[50:51]
	v_add_f64 v[96:97], v[8:9], -v[44:45]
	v_mul_f64 v[64:65], v[82:83], s[22:23]
	v_add_f64 v[80:81], v[16:17], v[36:37]
	v_mul_f64 v[74:75], v[144:145], s[34:35]
	v_add_f64 v[52:53], v[68:69], v[52:53]
	v_mul_f64 v[68:69], v[124:125], s[26:27]
	s_mov_b32 s16, 0xb2365da1
	s_mov_b32 s17, 0xbfd6b1d8
	v_add_f64 v[126:127], v[10:11], v[46:47]
	v_mul_f64 v[62:63], v[96:97], s[10:11]
	v_fma_f64 v[54:55], v[104:105], s[4:5], -v[64:65]
	v_fma_f64 v[90:91], v[80:81], s[16:17], v[74:75]
	v_mul_f64 v[102:103], v[100:101], s[10:11]
	v_fma_f64 v[86:87], v[72:73], s[18:19], v[68:69]
	v_mul_f64 v[183:184], v[82:83], s[10:11]
	v_add_f64 v[78:79], v[12:13], -v[40:41]
	v_mul_f64 v[110:111], v[108:109], s[34:35]
	v_fma_f64 v[70:71], v[126:127], s[8:9], -v[62:63]
	v_add_f64 v[54:55], v[2:3], v[54:55]
	v_mul_f64 v[132:133], v[96:97], s[34:35]
	s_mov_b32 s40, 0x4bc48dbf
	v_add_f64 v[52:53], v[86:87], v[52:53]
	v_fma_f64 v[92:93], v[104:105], s[8:9], -v[183:184]
	s_mov_b32 s41, 0xbfcea1e5
	v_add_f64 v[130:131], v[14:15], v[42:43]
	v_add_f64 v[84:85], v[16:17], -v[36:37]
	v_add_f64 v[54:55], v[70:71], v[54:55]
	v_mul_f64 v[70:71], v[78:79], s[26:27]
	v_fma_f64 v[114:115], v[66:67], s[16:17], v[110:111]
	v_add_f64 v[52:53], v[90:91], v[52:53]
	v_fma_f64 v[90:91], v[56:57], s[8:9], v[102:103]
	v_add_f64 v[92:93], v[2:3], v[92:93]
	v_fma_f64 v[116:117], v[126:127], s[16:17], -v[132:133]
	v_mul_f64 v[112:113], v[124:125], s[40:41]
	v_mul_f64 v[134:135], v[78:79], s[40:41]
	s_mov_b32 s36, 0x24c2f84
	s_mov_b32 s30, 0x93053d00
	;; [unrolled: 1-line block ×3, first 2 shown]
	v_add_f64 v[90:91], v[0:1], v[90:91]
	s_mov_b32 s31, 0xbfef11f4
	v_fma_f64 v[88:89], v[130:131], s[18:19], -v[70:71]
	v_add_f64 v[157:158], v[18:19], v[38:39]
	v_mul_f64 v[76:77], v[84:85], s[34:35]
	v_add_f64 v[177:178], v[22:23], -v[34:35]
	v_add_f64 v[128:129], v[20:21], -v[32:33]
	v_add_f64 v[92:93], v[116:117], v[92:93]
	v_add_f64 v[90:91], v[114:115], v[90:91]
	v_fma_f64 v[116:117], v[72:73], s[30:31], v[112:113]
	v_fma_f64 v[118:119], v[130:131], s[30:31], -v[134:135]
	v_mul_f64 v[114:115], v[144:145], s[36:37]
	v_mul_f64 v[136:137], v[84:85], s[36:37]
	s_mov_b32 s28, 0xd0032e0c
	s_mov_b32 s25, 0xbfe5384d
	;; [unrolled: 1-line block ×6, first 2 shown]
	v_add_f64 v[86:87], v[20:21], v[32:33]
	v_mul_f64 v[98:99], v[177:178], s[24:25]
	v_add_f64 v[54:55], v[88:89], v[54:55]
	v_fma_f64 v[88:89], v[157:158], s[16:17], -v[76:77]
	v_add_f64 v[199:200], v[22:23], v[34:35]
	v_mul_f64 v[106:107], v[128:129], s[24:25]
	v_add_f64 v[197:198], v[26:27], -v[30:31]
	v_add_f64 v[138:139], v[24:25], -v[28:29]
	v_add_f64 v[90:91], v[116:117], v[90:91]
	v_add_f64 v[92:93], v[118:119], v[92:93]
	v_fma_f64 v[122:123], v[80:81], s[28:29], v[114:115]
	v_fma_f64 v[146:147], v[157:158], s[28:29], -v[136:137]
	v_mul_f64 v[120:121], v[177:178], s[44:45]
	v_mul_f64 v[142:143], v[128:129], s[44:45]
	s_mov_b32 s39, 0x3fddbe06
	s_mov_b32 s38, s22
	v_fma_f64 v[94:95], v[86:87], s[28:29], v[98:99]
	v_add_f64 v[54:55], v[88:89], v[54:55]
	v_fma_f64 v[88:89], v[199:200], s[28:29], -v[106:107]
	v_add_f64 v[140:141], v[24:25], v[28:29]
	v_mul_f64 v[116:117], v[197:198], s[40:41]
	v_add_f64 v[201:202], v[26:27], v[30:31]
	v_mul_f64 v[118:119], v[138:139], s[40:41]
	v_add_f64 v[90:91], v[122:123], v[90:91]
	v_add_f64 v[92:93], v[146:147], v[92:93]
	v_fma_f64 v[148:149], v[86:87], s[18:19], v[120:121]
	v_fma_f64 v[150:151], v[199:200], s[18:19], -v[142:143]
	v_mul_f64 v[122:123], v[197:198], s[38:39]
	v_mul_f64 v[146:147], v[138:139], s[38:39]
	v_add_f64 v[52:53], v[94:95], v[52:53]
	v_add_f64 v[54:55], v[88:89], v[54:55]
	v_fma_f64 v[88:89], v[140:141], s[30:31], v[116:117]
	v_fma_f64 v[94:95], v[201:202], s[30:31], -v[118:119]
	v_add_f64 v[90:91], v[148:149], v[90:91]
	v_add_f64 v[148:149], v[150:151], v[92:93]
	v_fma_f64 v[150:151], v[140:141], s[4:5], v[122:123]
	v_fma_f64 v[152:153], v[201:202], s[4:5], -v[146:147]
	s_barrier
	v_add_f64 v[92:93], v[88:89], v[52:53]
	v_add_f64 v[94:95], v[94:95], v[54:55]
	v_mul_lo_u16_e32 v52, 13, v203
	v_add_f64 v[88:89], v[150:151], v[90:91]
	v_add_f64 v[90:91], v[152:153], v[148:149]
	buffer_store_dword v52, off, s[52:55], 0 offset:12 ; 4-byte Folded Spill
	s_mov_b64 s[20:21], exec
	s_and_b64 s[42:43], s[20:21], s[0:1]
	buffer_store_dword v203, off, s[52:55], 0 offset:8 ; 4-byte Folded Spill
	s_mov_b64 exec, s[42:43]
	s_cbranch_execz .LBB0_7
; %bb.6:
	v_mul_f64 v[52:53], v[104:105], s[30:31]
	v_mul_f64 v[203:204], v[100:101], s[40:41]
	s_mov_b32 s47, 0x3fcea1e5
	s_mov_b32 s46, s40
	v_mul_f64 v[54:55], v[126:127], s[4:5]
	v_mul_f64 v[211:212], v[108:109], s[38:39]
	;; [unrolled: 1-line block ×4, first 2 shown]
	v_fma_f64 v[205:206], v[82:83], s[46:47], v[52:53]
	v_fma_f64 v[213:214], v[56:57], s[30:31], v[203:204]
	;; [unrolled: 1-line block ×3, first 2 shown]
	s_mov_b32 s49, 0x3fea55e2
	v_fma_f64 v[215:216], v[96:97], s[22:23], v[54:55]
	v_fma_f64 v[225:226], v[66:67], s[4:5], v[211:212]
	s_mov_b32 s48, s10
	v_mul_f64 v[221:222], v[157:158], s[8:9]
	v_add_f64 v[205:206], v[2:3], v[205:206]
	v_add_f64 v[213:214], v[0:1], v[213:214]
	v_fma_f64 v[227:228], v[78:79], s[36:37], v[209:210]
	v_fma_f64 v[229:230], v[72:73], s[28:29], v[223:224]
	;; [unrolled: 1-line block ×3, first 2 shown]
	v_add_f64 v[52:53], v[2:3], v[52:53]
	v_mul_f64 v[217:218], v[199:200], s[16:17]
	v_fma_f64 v[209:210], v[78:79], s[24:25], v[209:210]
	v_add_f64 v[205:206], v[215:216], v[205:206]
	v_mul_f64 v[215:216], v[144:145], s[48:49]
	v_add_f64 v[213:214], v[225:226], v[213:214]
	v_fma_f64 v[225:226], v[84:85], s[10:11], v[221:222]
	s_mov_b32 s43, 0x3fedeba7
	v_add_f64 v[52:53], v[54:55], v[52:53]
	s_mov_b32 s42, s34
	v_fma_f64 v[203:204], v[56:57], s[30:31], -v[203:204]
	v_add_f64 v[205:206], v[227:228], v[205:206]
	v_mul_f64 v[227:228], v[177:178], s[34:35]
	v_fma_f64 v[231:232], v[80:81], s[8:9], v[215:216]
	v_add_f64 v[213:214], v[229:230], v[213:214]
	v_fma_f64 v[229:230], v[128:129], s[42:43], v[217:218]
	v_fma_f64 v[221:222], v[84:85], s[48:49], v[221:222]
	v_add_f64 v[52:53], v[209:210], v[52:53]
	v_mul_f64 v[207:208], v[201:202], s[18:19]
	v_add_f64 v[54:55], v[225:226], v[205:206]
	v_mul_f64 v[205:206], v[197:198], s[44:45]
	v_fma_f64 v[225:226], v[86:87], s[16:17], v[227:228]
	v_add_f64 v[213:214], v[231:232], v[213:214]
	v_fma_f64 v[211:212], v[66:67], s[4:5], -v[211:212]
	v_add_f64 v[203:204], v[0:1], v[203:204]
	v_fma_f64 v[217:218], v[128:129], s[34:35], v[217:218]
	v_add_f64 v[221:222], v[221:222], v[52:53]
	v_add_f64 v[54:55], v[229:230], v[54:55]
	v_fma_f64 v[209:210], v[140:141], s[18:19], v[205:206]
	v_mul_f64 v[229:230], v[104:105], s[28:29]
	v_add_f64 v[213:214], v[225:226], v[213:214]
	v_fma_f64 v[231:232], v[138:139], s[26:27], v[207:208]
	v_fma_f64 v[223:224], v[72:73], s[28:29], -v[223:224]
	v_add_f64 v[203:204], v[211:212], v[203:204]
	v_add_f64 v[211:212], v[217:218], v[221:222]
	v_fma_f64 v[221:222], v[140:141], s[18:19], -v[205:206]
	v_mul_f64 v[237:238], v[157:158], s[30:31]
	v_fma_f64 v[217:218], v[82:83], s[36:37], v[229:230]
	v_add_f64 v[52:53], v[209:210], v[213:214]
	v_mul_f64 v[209:210], v[100:101], s[24:25]
	v_fma_f64 v[213:214], v[80:81], s[8:9], -v[215:216]
	v_mul_f64 v[215:216], v[126:127], s[18:19]
	v_add_f64 v[54:55], v[231:232], v[54:55]
	v_add_f64 v[203:204], v[223:224], v[203:204]
	v_mul_f64 v[223:224], v[108:109], s[44:45]
	v_mul_f64 v[231:232], v[130:131], s[8:9]
	v_add_f64 v[217:218], v[2:3], v[217:218]
	v_fma_f64 v[205:206], v[56:57], s[28:29], v[209:210]
	v_fma_f64 v[229:230], v[82:83], s[24:25], v[229:230]
	;; [unrolled: 1-line block ×3, first 2 shown]
	v_mul_f64 v[241:242], v[144:145], s[46:47]
	v_add_f64 v[203:204], v[213:214], v[203:204]
	v_mul_f64 v[213:214], v[124:125], s[10:11]
	v_fma_f64 v[235:236], v[66:67], s[18:19], v[223:224]
	v_fma_f64 v[239:240], v[78:79], s[48:49], v[231:232]
	v_add_f64 v[205:206], v[0:1], v[205:206]
	v_fma_f64 v[215:216], v[96:97], s[44:45], v[215:216]
	v_add_f64 v[217:218], v[233:234], v[217:218]
	v_mul_f64 v[233:234], v[199:200], s[4:5]
	v_add_f64 v[229:230], v[2:3], v[229:230]
	v_fma_f64 v[243:244], v[72:73], s[8:9], v[213:214]
	v_fma_f64 v[207:208], v[138:139], s[44:45], v[207:208]
	v_fma_f64 v[227:228], v[86:87], s[16:17], -v[227:228]
	v_add_f64 v[205:206], v[235:236], v[205:206]
	v_fma_f64 v[235:236], v[84:85], s[40:41], v[237:238]
	v_add_f64 v[217:218], v[239:240], v[217:218]
	v_mul_f64 v[239:240], v[201:202], s[16:17]
	v_mul_f64 v[245:246], v[177:178], s[38:39]
	v_fma_f64 v[247:248], v[80:81], s[30:31], v[241:242]
	v_fma_f64 v[231:232], v[78:79], s[10:11], v[231:232]
	v_add_f64 v[215:216], v[215:216], v[229:230]
	v_add_f64 v[205:206], v[243:244], v[205:206]
	v_fma_f64 v[229:230], v[128:129], s[22:23], v[233:234]
	v_add_f64 v[217:218], v[235:236], v[217:218]
	v_add_f64 v[203:204], v[227:228], v[203:204]
	v_mul_f64 v[227:228], v[197:198], s[34:35]
	v_fma_f64 v[235:236], v[86:87], s[4:5], v[245:246]
	v_fma_f64 v[237:238], v[84:85], s[46:47], v[237:238]
	v_add_f64 v[215:216], v[231:232], v[215:216]
	v_add_f64 v[243:244], v[247:248], v[205:206]
	v_fma_f64 v[231:232], v[138:139], s[42:43], v[239:240]
	v_add_f64 v[217:218], v[229:230], v[217:218]
	v_add_f64 v[205:206], v[207:208], v[211:212]
	v_fma_f64 v[211:212], v[56:57], s[28:29], -v[209:210]
	v_fma_f64 v[207:208], v[140:141], s[16:17], v[227:228]
	v_fma_f64 v[233:234], v[128:129], s[38:39], v[233:234]
	v_add_f64 v[215:216], v[237:238], v[215:216]
	v_add_f64 v[229:230], v[235:236], v[243:244]
	;; [unrolled: 1-line block ×4, first 2 shown]
	v_fma_f64 v[217:218], v[66:67], s[18:19], -v[223:224]
	v_mul_f64 v[221:222], v[104:105], s[16:17]
	v_add_f64 v[211:212], v[0:1], v[211:212]
	v_fma_f64 v[213:214], v[72:73], s[8:9], -v[213:214]
	v_add_f64 v[215:216], v[233:234], v[215:216]
	v_add_f64 v[207:208], v[207:208], v[229:230]
	v_mul_f64 v[229:230], v[100:101], s[34:35]
	v_mul_f64 v[231:232], v[126:127], s[28:29]
	v_fma_f64 v[223:224], v[138:139], s[34:35], v[239:240]
	v_fma_f64 v[233:234], v[82:83], s[42:43], v[221:222]
	v_add_f64 v[211:212], v[217:218], v[211:212]
	v_fma_f64 v[217:218], v[140:141], s[16:17], -v[227:228]
	v_fma_f64 v[227:228], v[80:81], s[30:31], -v[241:242]
	v_mul_f64 v[235:236], v[130:131], s[4:5]
	v_mul_f64 v[237:238], v[108:109], s[36:37]
	v_fma_f64 v[239:240], v[56:57], s[16:17], v[229:230]
	v_fma_f64 v[241:242], v[96:97], s[24:25], v[231:232]
	v_add_f64 v[233:234], v[2:3], v[233:234]
	v_add_f64 v[211:212], v[213:214], v[211:212]
	v_fma_f64 v[221:222], v[82:83], s[34:35], v[221:222]
	v_mul_f64 v[213:214], v[157:158], s[18:19]
	v_mul_f64 v[243:244], v[124:125], s[38:39]
	v_fma_f64 v[247:248], v[66:67], s[28:29], v[237:238]
	v_add_f64 v[239:240], v[0:1], v[239:240]
	v_fma_f64 v[249:250], v[78:79], s[22:23], v[235:236]
	v_add_f64 v[233:234], v[241:242], v[233:234]
	v_add_f64 v[211:212], v[227:228], v[211:212]
	v_fma_f64 v[227:228], v[96:97], s[36:37], v[231:232]
	v_add_f64 v[221:222], v[2:3], v[221:222]
	v_fma_f64 v[231:232], v[84:85], s[44:45], v[213:214]
	v_fma_f64 v[241:242], v[72:73], s[4:5], v[243:244]
	v_add_f64 v[239:240], v[247:248], v[239:240]
	v_mul_f64 v[247:248], v[144:145], s[26:27]
	v_add_f64 v[233:234], v[249:250], v[233:234]
	v_mul_f64 v[249:250], v[199:200], s[30:31]
	v_fma_f64 v[245:246], v[86:87], s[4:5], -v[245:246]
	v_add_f64 v[221:222], v[227:228], v[221:222]
	v_fma_f64 v[235:236], v[78:79], s[38:39], v[235:236]
	v_mul_f64 v[227:228], v[177:178], s[46:47]
	v_add_f64 v[239:240], v[241:242], v[239:240]
	v_fma_f64 v[241:242], v[80:81], s[18:19], v[247:248]
	v_add_f64 v[231:232], v[231:232], v[233:234]
	v_fma_f64 v[233:234], v[128:129], s[40:41], v[249:250]
	v_add_f64 v[211:212], v[245:246], v[211:212]
	v_mul_f64 v[245:246], v[201:202], s[8:9]
	v_fma_f64 v[251:252], v[84:85], s[26:27], v[213:214]
	v_add_f64 v[221:222], v[235:236], v[221:222]
	v_mul_f64 v[175:176], v[104:105], s[4:5]
	v_mul_f64 v[219:220], v[104:105], s[8:9]
	v_fma_f64 v[235:236], v[86:87], s[30:31], v[227:228]
	v_add_f64 v[239:240], v[241:242], v[239:240]
	v_mul_f64 v[241:242], v[197:198], s[48:49]
	v_add_f64 v[231:232], v[233:234], v[231:232]
	v_add_f64 v[213:214], v[223:224], v[215:216]
	v_fma_f64 v[215:216], v[128:129], s[46:47], v[249:250]
	v_add_f64 v[221:222], v[251:252], v[221:222]
	v_fma_f64 v[223:224], v[138:139], s[10:11], v[245:246]
	v_mul_f64 v[104:105], v[104:105], s[18:19]
	v_mul_f64 v[171:172], v[126:127], s[8:9]
	;; [unrolled: 1-line block ×3, first 2 shown]
	v_add_f64 v[235:236], v[235:236], v[239:240]
	v_fma_f64 v[239:240], v[140:141], s[8:9], v[241:242]
	v_add_f64 v[211:212], v[217:218], v[211:212]
	v_fma_f64 v[245:246], v[138:139], s[48:49], v[245:246]
	v_fma_f64 v[229:230], v[56:57], s[16:17], -v[229:230]
	v_add_f64 v[221:222], v[215:216], v[221:222]
	v_add_f64 v[217:218], v[223:224], v[231:232]
	v_mul_f64 v[126:127], v[126:127], s[30:31]
	v_fma_f64 v[231:232], v[82:83], s[44:45], v[104:105]
	v_fma_f64 v[82:83], v[82:83], s[26:27], v[104:105]
	v_mul_f64 v[161:162], v[130:131], s[18:19]
	v_mul_f64 v[191:192], v[130:131], s[30:31]
	v_add_f64 v[215:216], v[239:240], v[235:236]
	v_mul_f64 v[223:224], v[100:101], s[26:27]
	v_fma_f64 v[235:236], v[66:67], s[28:29], -v[237:238]
	v_add_f64 v[229:230], v[0:1], v[229:230]
	v_add_f64 v[100:101], v[245:246], v[221:222]
	v_mul_f64 v[130:131], v[130:131], s[16:17]
	v_fma_f64 v[221:222], v[96:97], s[46:47], v[126:127]
	v_fma_f64 v[96:97], v[96:97], s[40:41], v[126:127]
	v_add_f64 v[82:83], v[2:3], v[82:83]
	v_add_f64 v[183:184], v[183:184], v[219:220]
	;; [unrolled: 1-line block ×3, first 2 shown]
	v_mul_f64 v[165:166], v[56:57], s[4:5]
	v_mul_f64 v[169:170], v[56:57], s[8:9]
	;; [unrolled: 1-line block ×5, first 2 shown]
	v_fma_f64 v[237:238], v[56:57], s[18:19], v[223:224]
	v_add_f64 v[229:230], v[235:236], v[229:230]
	v_mul_f64 v[156:157], v[157:158], s[4:5]
	v_fma_f64 v[235:236], v[78:79], s[34:35], v[130:131]
	v_add_f64 v[6:7], v[2:3], v[6:7]
	v_fma_f64 v[78:79], v[78:79], s[42:43], v[130:131]
	v_fma_f64 v[56:57], v[56:57], s[18:19], -v[223:224]
	v_add_f64 v[82:83], v[96:97], v[82:83]
	v_add_f64 v[96:97], v[132:133], v[193:194]
	;; [unrolled: 1-line block ×4, first 2 shown]
	v_mul_f64 v[163:164], v[66:67], s[8:9]
	v_mul_f64 v[173:174], v[66:67], s[16:17]
	;; [unrolled: 1-line block ×4, first 2 shown]
	v_fma_f64 v[239:240], v[72:73], s[4:5], -v[243:244]
	v_mul_f64 v[124:125], v[124:125], s[42:43]
	v_fma_f64 v[243:244], v[66:67], s[30:31], v[108:109]
	v_mul_f64 v[199:200], v[199:200], s[8:9]
	v_add_f64 v[6:7], v[6:7], v[10:11]
	v_fma_f64 v[8:9], v[84:85], s[38:39], v[156:157]
	v_fma_f64 v[10:11], v[66:67], s[30:31], -v[108:109]
	v_add_f64 v[56:57], v[0:1], v[56:57]
	v_add_f64 v[66:67], v[78:79], v[82:83]
	;; [unrolled: 1-line block ×6, first 2 shown]
	v_fma_f64 v[12:13], v[128:129], s[10:11], v[199:200]
	v_fma_f64 v[14:15], v[72:73], s[16:17], -v[124:125]
	v_add_f64 v[10:11], v[10:11], v[56:57]
	v_add_f64 v[8:9], v[8:9], v[66:67]
	v_add_f64 v[56:57], v[136:137], v[187:188]
	v_add_f64 v[66:67], v[78:79], v[82:83]
	v_add_f64 v[4:5], v[4:5], v[16:17]
	v_add_f64 v[6:7], v[6:7], v[18:19]
	v_mul_f64 v[167:168], v[72:73], s[30:31]
	v_add_f64 v[237:238], v[0:1], v[237:238]
	v_add_f64 v[10:11], v[14:15], v[10:11]
	;; [unrolled: 1-line block ×7, first 2 shown]
	v_mul_f64 v[159:160], v[80:81], s[28:29]
	v_mul_f64 v[144:145], v[144:145], s[38:39]
	;; [unrolled: 1-line block ×5, first 2 shown]
	v_add_f64 v[12:13], v[12:13], v[14:15]
	v_add_f64 v[4:5], v[4:5], v[24:25]
	v_add_f64 v[14:15], v[165:166], -v[58:59]
	v_add_f64 v[24:25], v[169:170], -v[102:103]
	v_add_f64 v[6:7], v[6:7], v[26:27]
	v_add_f64 v[26:27], v[173:174], -v[110:111]
	v_fma_f64 v[18:19], v[80:81], s[4:5], -v[144:145]
	v_mul_f64 v[233:234], v[201:202], s[4:5]
	v_mul_f64 v[104:105], v[197:198], s[24:25]
	v_add_f64 v[4:5], v[4:5], v[28:29]
	v_add_f64 v[14:15], v[0:1], v[14:15]
	;; [unrolled: 1-line block ×4, first 2 shown]
	v_add_f64 v[24:25], v[167:168], -v[112:113]
	v_fma_f64 v[22:23], v[86:87], s[8:9], -v[177:178]
	v_add_f64 v[10:11], v[18:19], v[10:11]
	v_fma_f64 v[20:21], v[140:141], s[28:29], -v[104:105]
	v_add_f64 v[4:5], v[4:5], v[32:33]
	v_add_f64 v[18:19], v[146:147], v[233:234]
	;; [unrolled: 1-line block ×4, first 2 shown]
	v_add_f64 v[26:27], v[159:160], -v[114:115]
	v_add_f64 v[56:57], v[64:65], v[175:176]
	v_add_f64 v[22:23], v[22:23], v[10:11]
	v_mul_f64 v[154:155], v[72:73], s[18:19]
	v_add_f64 v[4:5], v[4:5], v[36:37]
	v_add_f64 v[231:232], v[2:3], v[231:232]
	;; [unrolled: 1-line block ×4, first 2 shown]
	v_add_f64 v[24:25], v[181:182], -v[120:121]
	v_add_f64 v[58:59], v[62:63], v[171:172]
	v_add_f64 v[2:3], v[2:3], v[56:57]
	v_add_f64 v[56:57], v[163:164], -v[60:61]
	v_add_f64 v[4:5], v[4:5], v[40:41]
	v_mul_f64 v[150:151], v[80:81], s[16:17]
	v_add_f64 v[0:1], v[26:27], v[0:1]
	v_add_f64 v[6:7], v[6:7], v[42:43]
	v_add_f64 v[26:27], v[225:226], -v[122:123]
	v_add_f64 v[28:29], v[70:71], v[161:162]
	v_add_f64 v[2:3], v[58:59], v[2:3]
	v_add_f64 v[30:31], v[154:155], -v[68:69]
	v_add_f64 v[4:5], v[4:5], v[44:45]
	v_add_f64 v[14:15], v[56:57], v[14:15]
	;; [unrolled: 1-line block ×5, first 2 shown]
	v_mul_f64 v[148:149], v[86:87], s[28:29]
	v_add_f64 v[32:33], v[76:77], v[152:153]
	v_add_f64 v[2:3], v[28:29], v[2:3]
	;; [unrolled: 1-line block ×3, first 2 shown]
	v_add_f64 v[28:29], v[150:151], -v[74:75]
	v_add_f64 v[4:5], v[26:27], v[0:1]
	v_add_f64 v[0:1], v[20:21], v[22:23]
	buffer_load_dword v20, off, s[52:55], 0 offset:12 ; 4-byte Folded Reload
	v_add_f64 v[14:15], v[30:31], v[14:15]
	v_add_f64 v[221:222], v[221:222], v[231:232]
	v_fma_f64 v[231:232], v[80:81], s[18:19], -v[247:248]
	v_add_f64 v[229:230], v[239:240], v[229:230]
	v_mul_f64 v[185:186], v[140:141], s[30:31]
	v_mul_f64 v[189:190], v[201:202], s[30:31]
	;; [unrolled: 1-line block ×3, first 2 shown]
	v_add_f64 v[30:31], v[106:107], v[179:180]
	v_add_f64 v[2:3], v[32:33], v[2:3]
	v_add_f64 v[32:33], v[148:149], -v[98:99]
	v_add_f64 v[14:15], v[28:29], v[14:15]
	v_fma_f64 v[239:240], v[84:85], s[22:23], v[156:157]
	v_add_f64 v[221:222], v[235:236], v[221:222]
	v_fma_f64 v[227:228], v[86:87], s[30:31], -v[227:228]
	v_add_f64 v[229:230], v[231:232], v[229:230]
	v_fma_f64 v[16:17], v[138:139], s[24:25], v[201:202]
	v_add_f64 v[28:29], v[118:119], v[189:190]
	v_add_f64 v[30:31], v[30:31], v[2:3]
	v_add_f64 v[34:35], v[185:186], -v[116:117]
	v_add_f64 v[32:33], v[32:33], v[14:15]
	v_add_f64 v[221:222], v[239:240], v[221:222]
	v_fma_f64 v[239:240], v[140:141], s[8:9], -v[241:242]
	v_add_f64 v[197:198], v[227:228], v[229:230]
	v_add_f64 v[14:15], v[36:37], v[50:51]
	v_add_f64 v[2:3], v[16:17], v[8:9]
	v_add_f64 v[10:11], v[28:29], v[30:31]
	v_fma_f64 v[245:246], v[72:73], s[16:17], v[124:125]
	v_add_f64 v[8:9], v[34:35], v[32:33]
	v_add_f64 v[237:238], v[243:244], v[237:238]
	v_fma_f64 v[235:236], v[80:81], s[4:5], v[144:145]
	v_add_f64 v[98:99], v[239:240], v[197:198]
	v_fma_f64 v[231:232], v[128:129], s[48:49], v[199:200]
	v_fma_f64 v[229:230], v[86:87], s[8:9], v[177:178]
	;; [unrolled: 1-line block ×4, first 2 shown]
	v_add_f64 v[237:238], v[245:246], v[237:238]
	v_add_f64 v[221:222], v[231:232], v[221:222]
	;; [unrolled: 1-line block ×6, first 2 shown]
	s_waitcnt vmcnt(0)
	v_lshlrev_b32_e32 v20, 4, v20
	ds_write_b128 v20, v[12:15]
	ds_write_b128 v20, v[8:11] offset:16
	ds_write_b128 v20, v[4:7] offset:32
	;; [unrolled: 1-line block ×6, first 2 shown]
	buffer_load_dword v203, off, s[52:55], 0 offset:8 ; 4-byte Folded Reload
	ds_write_b128 v20, v[52:55] offset:112
	ds_write_b128 v20, v[207:210] offset:128
	;; [unrolled: 1-line block ×6, first 2 shown]
.LBB0_7:
	s_or_b64 exec, exec, s[20:21]
	s_movk_i32 s8, 0x4f
	s_waitcnt vmcnt(0)
	v_mul_lo_u16_sdwa v0, v203, s8 dst_sel:DWORD dst_unused:UNUSED_PAD src0_sel:BYTE_0 src1_sel:DWORD
	v_lshrrev_b16_e32 v20, 10, v0
	v_mul_lo_u16_e32 v0, 13, v20
	v_sub_u16_e32 v0, v203, v0
	v_and_b32_e32 v21, 0xff, v0
	v_mul_u32_u24_e32 v0, 10, v21
	v_lshlrev_b32_e32 v22, 4, v0
	s_load_dwordx4 s[4:7], s[6:7], 0x0
	s_waitcnt lgkmcnt(0)
	s_barrier
	global_load_dwordx4 v[48:51], v22, s[2:3]
	global_load_dwordx4 v[40:43], v22, s[2:3] offset:16
	global_load_dwordx4 v[12:15], v22, s[2:3] offset:32
	;; [unrolled: 1-line block ×9, first 2 shown]
	ds_read_b128 v[22:25], v255
	ds_read_b128 v[32:35], v255 offset:2704
	ds_read_b128 v[52:55], v255 offset:5408
	ds_read_b128 v[56:59], v255 offset:8112
	ds_read_b128 v[60:63], v255 offset:10816
	ds_read_b128 v[64:67], v255 offset:13520
	ds_read_b128 v[68:71], v255 offset:16224
	ds_read_b128 v[72:75], v255 offset:18928
	ds_read_b128 v[76:79], v255 offset:21632
	ds_read_b128 v[80:83], v255 offset:24336
	ds_read_b128 v[84:87], v255 offset:27040
	s_mov_b32 s28, 0xf8bb580b
	s_mov_b32 s29, 0xbfe14ced
	;; [unrolled: 1-line block ×26, first 2 shown]
	v_mul_u32_u24_e32 v20, 0x8f, v20
	v_add_lshl_u32 v156, v20, v21, 4
	s_waitcnt vmcnt(0) lgkmcnt(0)
	s_barrier
	v_mul_f64 v[26:27], v[34:35], v[50:51]
	v_mul_f64 v[96:97], v[32:33], v[50:51]
	;; [unrolled: 1-line block ×17, first 2 shown]
	v_fma_f64 v[26:27], v[32:33], v[48:49], -v[26:27]
	v_mul_f64 v[128:129], v[80:81], v[30:31]
	v_fma_f64 v[32:33], v[34:35], v[48:49], v[96:97]
	v_fma_f64 v[34:35], v[52:53], v[40:41], -v[98:99]
	v_fma_f64 v[52:53], v[54:55], v[40:41], v[100:101]
	v_fma_f64 v[54:55], v[56:57], v[12:13], -v[102:103]
	v_fma_f64 v[56:57], v[58:59], v[12:13], v[104:105]
	v_fma_f64 v[58:59], v[60:61], v[4:5], -v[106:107]
	v_fma_f64 v[60:61], v[62:63], v[4:5], v[108:109]
	v_fma_f64 v[62:63], v[64:65], v[44:45], -v[110:111]
	v_fma_f64 v[64:65], v[66:67], v[44:45], v[112:113]
	v_fma_f64 v[66:67], v[68:69], v[16:17], -v[114:115]
	v_fma_f64 v[68:69], v[70:71], v[16:17], v[116:117]
	v_fma_f64 v[70:71], v[72:73], v[8:9], -v[118:119]
	v_fma_f64 v[72:73], v[74:75], v[8:9], v[120:121]
	v_fma_f64 v[74:75], v[84:85], v[36:37], -v[130:131]
	v_fma_f64 v[84:85], v[86:87], v[36:37], v[132:133]
	v_fma_f64 v[80:81], v[80:81], v[28:29], -v[126:127]
	v_add_f64 v[86:87], v[22:23], v[26:27]
	v_fma_f64 v[82:83], v[82:83], v[28:29], v[128:129]
	v_add_f64 v[96:97], v[24:25], v[32:33]
	v_mul_f64 v[122:123], v[78:79], v[2:3]
	v_mul_f64 v[124:125], v[76:77], v[2:3]
	v_add_f64 v[98:99], v[26:27], v[74:75]
	v_add_f64 v[100:101], v[32:33], v[84:85]
	;; [unrolled: 1-line block ×3, first 2 shown]
	v_add_f64 v[106:107], v[34:35], -v[80:81]
	v_add_f64 v[34:35], v[86:87], v[34:35]
	v_add_f64 v[104:105], v[52:53], v[82:83]
	v_add_f64 v[108:109], v[52:53], -v[82:83]
	v_add_f64 v[52:53], v[96:97], v[52:53]
	v_fma_f64 v[76:77], v[76:77], v[0:1], -v[122:123]
	v_add_f64 v[32:33], v[32:33], -v[84:85]
	v_add_f64 v[26:27], v[26:27], -v[74:75]
	v_fma_f64 v[78:79], v[78:79], v[0:1], v[124:125]
	v_add_f64 v[34:35], v[34:35], v[54:55]
	v_mul_f64 v[124:125], v[106:107], s[18:19]
	v_mul_f64 v[122:123], v[108:109], s[18:19]
	v_add_f64 v[52:53], v[52:53], v[56:57]
	v_mul_f64 v[126:127], v[108:109], s[24:25]
	v_mul_f64 v[86:87], v[32:33], s[28:29]
	;; [unrolled: 1-line block ×4, first 2 shown]
	v_add_f64 v[34:35], v[34:35], v[58:59]
	v_mul_f64 v[116:117], v[26:27], s[16:17]
	v_mul_f64 v[120:121], v[26:27], s[24:25]
	v_add_f64 v[52:53], v[52:53], v[60:61]
	v_mul_f64 v[26:27], v[26:27], s[30:31]
	v_fma_f64 v[128:129], v[98:99], s[20:21], -v[86:87]
	v_fma_f64 v[130:131], v[100:101], s[20:21], v[96:97]
	v_fma_f64 v[86:87], v[98:99], s[20:21], v[86:87]
	v_add_f64 v[34:35], v[34:35], v[62:63]
	v_fma_f64 v[96:97], v[100:101], s[20:21], -v[96:97]
	v_mul_f64 v[110:111], v[32:33], s[18:19]
	v_add_f64 v[52:53], v[52:53], v[64:65]
	v_mul_f64 v[114:115], v[32:33], s[16:17]
	v_mul_f64 v[118:119], v[32:33], s[24:25]
	v_mul_f64 v[32:33], v[32:33], s[30:31]
	v_fma_f64 v[134:135], v[100:101], s[8:9], v[112:113]
	v_add_f64 v[34:35], v[34:35], v[66:67]
	v_fma_f64 v[112:113], v[100:101], s[8:9], -v[112:113]
	v_fma_f64 v[138:139], v[100:101], s[10:11], v[116:117]
	v_add_f64 v[52:53], v[52:53], v[68:69]
	v_fma_f64 v[116:117], v[100:101], s[10:11], -v[116:117]
	v_fma_f64 v[142:143], v[100:101], s[22:23], v[120:121]
	v_fma_f64 v[120:121], v[100:101], s[22:23], -v[120:121]
	v_fma_f64 v[146:147], v[100:101], s[26:27], v[26:27]
	v_add_f64 v[34:35], v[34:35], v[70:71]
	v_fma_f64 v[26:27], v[100:101], s[26:27], -v[26:27]
	v_fma_f64 v[100:101], v[102:103], s[8:9], -v[122:123]
	v_add_f64 v[52:53], v[52:53], v[72:73]
	v_fma_f64 v[122:123], v[102:103], s[8:9], v[122:123]
	v_add_f64 v[128:129], v[22:23], v[128:129]
	v_add_f64 v[86:87], v[22:23], v[86:87]
	;; [unrolled: 1-line block ×4, first 2 shown]
	v_fma_f64 v[132:133], v[98:99], s[8:9], -v[110:111]
	v_fma_f64 v[110:111], v[98:99], s[8:9], v[110:111]
	v_add_f64 v[52:53], v[52:53], v[78:79]
	v_fma_f64 v[136:137], v[98:99], s[10:11], -v[114:115]
	v_fma_f64 v[114:115], v[98:99], s[10:11], v[114:115]
	v_fma_f64 v[140:141], v[98:99], s[22:23], -v[118:119]
	v_fma_f64 v[118:119], v[98:99], s[22:23], v[118:119]
	v_add_f64 v[34:35], v[34:35], v[80:81]
	v_fma_f64 v[144:145], v[98:99], s[26:27], -v[32:33]
	v_fma_f64 v[32:33], v[98:99], s[26:27], v[32:33]
	v_add_f64 v[52:53], v[52:53], v[82:83]
	v_fma_f64 v[148:149], v[104:105], s[8:9], v[124:125]
	v_add_f64 v[130:131], v[24:25], v[130:131]
	v_add_f64 v[134:135], v[24:25], v[134:135]
	;; [unrolled: 1-line block ×4, first 2 shown]
	v_mul_f64 v[34:35], v[106:107], s[24:25]
	v_add_f64 v[138:139], v[24:25], v[138:139]
	v_add_f64 v[116:117], v[24:25], v[116:117]
	;; [unrolled: 1-line block ×9, first 2 shown]
	v_fma_f64 v[86:87], v[104:105], s[22:23], v[34:35]
	v_mul_f64 v[100:101], v[108:109], s[38:39]
	v_mul_f64 v[122:123], v[106:107], s[38:39]
	v_fma_f64 v[124:125], v[104:105], s[8:9], -v[124:125]
	v_add_f64 v[132:133], v[22:23], v[132:133]
	v_add_f64 v[110:111], v[22:23], v[110:111]
	;; [unrolled: 1-line block ×10, first 2 shown]
	v_fma_f64 v[128:129], v[102:103], s[26:27], -v[100:101]
	v_fma_f64 v[130:131], v[104:105], s[26:27], v[122:123]
	v_fma_f64 v[100:101], v[102:103], s[26:27], v[100:101]
	v_fma_f64 v[122:123], v[104:105], s[26:27], -v[122:123]
	v_mul_f64 v[134:135], v[106:107], s[36:37]
	v_fma_f64 v[150:151], v[102:103], s[22:23], -v[126:127]
	v_add_f64 v[74:75], v[124:125], v[152:153]
	v_mul_f64 v[124:125], v[108:109], s[36:37]
	v_fma_f64 v[126:127], v[102:103], s[22:23], v[126:127]
	v_fma_f64 v[34:35], v[104:105], s[22:23], -v[34:35]
	v_add_f64 v[100:101], v[100:101], v[114:115]
	v_add_f64 v[114:115], v[122:123], v[116:117]
	v_fma_f64 v[116:117], v[104:105], s[10:11], v[134:135]
	v_add_f64 v[84:85], v[150:151], v[132:133]
	v_mul_f64 v[108:109], v[108:109], s[34:35]
	v_fma_f64 v[132:133], v[102:103], s[10:11], -v[124:125]
	v_fma_f64 v[122:123], v[102:103], s[10:11], v[124:125]
	v_add_f64 v[124:125], v[56:57], -v[78:79]
	v_mul_f64 v[106:107], v[106:107], s[34:35]
	v_add_f64 v[110:111], v[126:127], v[110:111]
	v_add_f64 v[82:83], v[116:117], v[82:83]
	v_add_f64 v[116:117], v[54:55], -v[76:77]
	v_add_f64 v[34:35], v[34:35], v[112:113]
	v_add_f64 v[112:113], v[128:129], v[136:137]
	;; [unrolled: 1-line block ×3, first 2 shown]
	v_fma_f64 v[128:129], v[104:105], s[10:11], -v[134:135]
	v_add_f64 v[118:119], v[122:123], v[118:119]
	v_add_f64 v[54:55], v[54:55], v[76:77]
	v_mul_f64 v[76:77], v[124:125], s[16:17]
	v_fma_f64 v[122:123], v[102:103], s[20:21], -v[108:109]
	v_fma_f64 v[130:131], v[104:105], s[20:21], v[106:107]
	v_add_f64 v[56:57], v[56:57], v[78:79]
	v_mul_f64 v[78:79], v[116:117], s[16:17]
	v_add_f64 v[80:81], v[132:133], v[80:81]
	v_add_f64 v[120:121], v[128:129], v[120:121]
	v_fma_f64 v[102:103], v[102:103], s[20:21], v[108:109]
	v_fma_f64 v[104:105], v[104:105], s[20:21], -v[106:107]
	v_fma_f64 v[106:107], v[54:55], s[10:11], -v[76:77]
	v_add_f64 v[108:109], v[122:123], v[140:141]
	v_add_f64 v[122:123], v[130:131], v[142:143]
	v_mul_f64 v[128:129], v[124:125], s[38:39]
	v_mul_f64 v[130:131], v[116:117], s[38:39]
	v_fma_f64 v[132:133], v[56:57], s[10:11], v[78:79]
	s_mov_b32 s19, 0x3fed1bb4
	v_add_f64 v[22:23], v[102:103], v[22:23]
	v_add_f64 v[24:25], v[104:105], v[24:25]
	;; [unrolled: 1-line block ×3, first 2 shown]
	v_fma_f64 v[76:77], v[54:55], s[10:11], v[76:77]
	v_fma_f64 v[78:79], v[56:57], s[10:11], -v[78:79]
	v_fma_f64 v[102:103], v[54:55], s[26:27], -v[128:129]
	v_fma_f64 v[104:105], v[56:57], s[26:27], v[130:131]
	v_add_f64 v[32:33], v[132:133], v[32:33]
	v_mul_f64 v[106:107], v[124:125], s[18:19]
	v_mul_f64 v[132:133], v[116:117], s[18:19]
	v_add_f64 v[52:53], v[76:77], v[52:53]
	v_add_f64 v[74:75], v[78:79], v[74:75]
	;; [unrolled: 1-line block ×4, first 2 shown]
	v_fma_f64 v[84:85], v[54:55], s[26:27], v[128:129]
	v_fma_f64 v[86:87], v[56:57], s[26:27], -v[130:131]
	v_fma_f64 v[102:103], v[54:55], s[8:9], -v[106:107]
	v_fma_f64 v[104:105], v[56:57], s[8:9], v[132:133]
	v_mul_f64 v[128:129], v[124:125], s[28:29]
	v_mul_f64 v[130:131], v[116:117], s[28:29]
	v_fma_f64 v[106:107], v[54:55], s[8:9], v[106:107]
	v_fma_f64 v[132:133], v[56:57], s[8:9], -v[132:133]
	v_add_f64 v[84:85], v[84:85], v[110:111]
	v_add_f64 v[34:35], v[86:87], v[34:35]
	v_add_f64 v[86:87], v[102:103], v[112:113]
	v_add_f64 v[102:103], v[104:105], v[126:127]
	v_fma_f64 v[104:105], v[54:55], s[20:21], -v[128:129]
	v_fma_f64 v[110:111], v[56:57], s[20:21], v[130:131]
	v_add_f64 v[100:101], v[106:107], v[100:101]
	v_add_f64 v[106:107], v[132:133], v[114:115]
	v_mul_f64 v[112:113], v[124:125], s[24:25]
	v_mul_f64 v[114:115], v[116:117], s[24:25]
	v_fma_f64 v[116:117], v[54:55], s[20:21], v[128:129]
	v_fma_f64 v[124:125], v[56:57], s[20:21], -v[130:131]
	v_add_f64 v[80:81], v[104:105], v[80:81]
	v_add_f64 v[82:83], v[110:111], v[82:83]
	v_add_f64 v[104:105], v[60:61], -v[72:73]
	v_add_f64 v[110:111], v[58:59], -v[70:71]
	v_fma_f64 v[126:127], v[54:55], s[22:23], -v[112:113]
	v_fma_f64 v[128:129], v[56:57], s[22:23], v[114:115]
	v_add_f64 v[58:59], v[58:59], v[70:71]
	v_add_f64 v[60:61], v[60:61], v[72:73]
	v_fma_f64 v[54:55], v[54:55], s[22:23], v[112:113]
	v_add_f64 v[116:117], v[116:117], v[118:119]
	v_mul_f64 v[70:71], v[104:105], s[24:25]
	v_mul_f64 v[72:73], v[110:111], s[24:25]
	;; [unrolled: 1-line block ×3, first 2 shown]
	v_add_f64 v[118:119], v[124:125], v[120:121]
	v_add_f64 v[120:121], v[128:129], v[122:123]
	;; [unrolled: 1-line block ×4, first 2 shown]
	v_fma_f64 v[56:57], v[56:57], s[22:23], -v[114:115]
	v_fma_f64 v[122:123], v[58:59], s[22:23], -v[70:71]
	v_fma_f64 v[124:125], v[60:61], s[22:23], v[72:73]
	v_fma_f64 v[70:71], v[58:59], s[22:23], v[70:71]
	v_fma_f64 v[72:73], v[60:61], s[22:23], -v[72:73]
	v_fma_f64 v[54:55], v[58:59], s[10:11], -v[112:113]
	v_mul_f64 v[114:115], v[110:111], s[36:37]
	v_fma_f64 v[112:113], v[58:59], s[10:11], v[112:113]
	v_add_f64 v[24:25], v[56:57], v[24:25]
	v_add_f64 v[26:27], v[122:123], v[26:27]
	;; [unrolled: 1-line block ×5, first 2 shown]
	v_mul_f64 v[72:73], v[104:105], s[28:29]
	v_mul_f64 v[74:75], v[110:111], s[28:29]
	v_add_f64 v[54:55], v[54:55], v[76:77]
	v_mul_f64 v[76:77], v[104:105], s[30:31]
	v_fma_f64 v[56:57], v[60:61], s[10:11], v[114:115]
	v_fma_f64 v[114:115], v[60:61], s[10:11], -v[114:115]
	v_add_f64 v[84:85], v[112:113], v[84:85]
	v_fma_f64 v[122:123], v[58:59], s[20:21], -v[72:73]
	v_fma_f64 v[124:125], v[60:61], s[20:21], v[74:75]
	v_fma_f64 v[72:73], v[58:59], s[20:21], v[72:73]
	v_fma_f64 v[126:127], v[58:59], s[26:27], -v[76:77]
	v_add_f64 v[56:57], v[56:57], v[78:79]
	v_mul_f64 v[78:79], v[110:111], s[30:31]
	v_fma_f64 v[74:75], v[60:61], s[20:21], -v[74:75]
	v_fma_f64 v[76:77], v[58:59], s[26:27], v[76:77]
	v_add_f64 v[86:87], v[122:123], v[86:87]
	v_add_f64 v[122:123], v[124:125], v[102:103]
	v_add_f64 v[124:125], v[64:65], -v[68:69]
	v_add_f64 v[80:81], v[126:127], v[80:81]
	v_add_f64 v[126:127], v[62:63], -v[66:67]
	v_add_f64 v[72:73], v[72:73], v[100:101]
	v_mul_f64 v[100:101], v[104:105], s[18:19]
	v_mul_f64 v[102:103], v[110:111], s[18:19]
	v_add_f64 v[62:63], v[62:63], v[66:67]
	v_add_f64 v[64:65], v[64:65], v[68:69]
	v_mul_f64 v[66:67], v[124:125], s[30:31]
	v_fma_f64 v[128:129], v[60:61], s[26:27], v[78:79]
	v_mul_f64 v[68:69], v[126:127], s[30:31]
	v_add_f64 v[74:75], v[74:75], v[106:107]
	v_fma_f64 v[78:79], v[60:61], s[26:27], -v[78:79]
	v_fma_f64 v[104:105], v[58:59], s[8:9], -v[100:101]
	v_fma_f64 v[106:107], v[60:61], s[8:9], v[102:103]
	v_fma_f64 v[58:59], v[58:59], s[8:9], v[100:101]
	v_fma_f64 v[60:61], v[60:61], s[8:9], -v[102:103]
	v_fma_f64 v[100:101], v[62:63], s[26:27], -v[66:67]
	v_fma_f64 v[102:103], v[64:65], s[26:27], v[68:69]
	v_add_f64 v[34:35], v[114:115], v[34:35]
	v_add_f64 v[76:77], v[76:77], v[116:117]
	v_add_f64 v[132:133], v[104:105], v[108:109]
	v_add_f64 v[134:135], v[106:107], v[120:121]
	v_mul_f64 v[104:105], v[124:125], s[34:35]
	v_mul_f64 v[106:107], v[126:127], s[34:35]
	v_add_f64 v[100:101], v[100:101], v[26:27]
	v_add_f64 v[102:103], v[102:103], v[32:33]
	v_fma_f64 v[26:27], v[62:63], s[26:27], v[66:67]
	v_fma_f64 v[32:33], v[64:65], s[26:27], -v[68:69]
	v_mul_f64 v[66:67], v[124:125], s[24:25]
	v_mul_f64 v[68:69], v[126:127], s[24:25]
	v_add_f64 v[78:79], v[78:79], v[118:119]
	v_add_f64 v[22:23], v[58:59], v[22:23]
	;; [unrolled: 1-line block ×3, first 2 shown]
	v_fma_f64 v[58:59], v[62:63], s[20:21], -v[104:105]
	v_fma_f64 v[60:61], v[64:65], s[20:21], v[106:107]
	v_fma_f64 v[108:109], v[62:63], s[20:21], v[104:105]
	v_fma_f64 v[110:111], v[64:65], s[20:21], -v[106:107]
	v_add_f64 v[116:117], v[26:27], v[52:53]
	v_add_f64 v[118:119], v[32:33], v[70:71]
	v_fma_f64 v[26:27], v[62:63], s[22:23], -v[66:67]
	v_fma_f64 v[32:33], v[64:65], s[22:23], v[68:69]
	v_add_f64 v[104:105], v[58:59], v[54:55]
	v_add_f64 v[106:107], v[60:61], v[56:57]
	;; [unrolled: 1-line block ×4, first 2 shown]
	v_fma_f64 v[34:35], v[62:63], s[22:23], v[66:67]
	v_fma_f64 v[52:53], v[64:65], s[22:23], -v[68:69]
	v_mul_f64 v[54:55], v[124:125], s[18:19]
	v_mul_f64 v[56:57], v[126:127], s[18:19]
	v_add_f64 v[108:109], v[26:27], v[86:87]
	v_add_f64 v[110:111], v[32:33], v[122:123]
	v_mul_f64 v[26:27], v[124:125], s[16:17]
	v_mul_f64 v[32:33], v[126:127], s[16:17]
	v_add_f64 v[82:83], v[128:129], v[82:83]
	v_add_f64 v[128:129], v[34:35], v[72:73]
	;; [unrolled: 1-line block ×3, first 2 shown]
	v_fma_f64 v[34:35], v[62:63], s[8:9], -v[54:55]
	v_fma_f64 v[52:53], v[64:65], s[8:9], v[56:57]
	v_fma_f64 v[54:55], v[62:63], s[8:9], v[54:55]
	v_fma_f64 v[56:57], v[64:65], s[8:9], -v[56:57]
	v_fma_f64 v[58:59], v[62:63], s[10:11], -v[26:27]
	v_fma_f64 v[60:61], v[64:65], s[10:11], v[32:33]
	v_fma_f64 v[26:27], v[62:63], s[10:11], v[26:27]
	v_fma_f64 v[32:33], v[64:65], s[10:11], -v[32:33]
	v_add_f64 v[120:121], v[34:35], v[80:81]
	v_add_f64 v[122:123], v[52:53], v[82:83]
	;; [unrolled: 1-line block ×8, first 2 shown]
	ds_write_b128 v156, v[96:99]
	ds_write_b128 v156, v[100:103] offset:208
	ds_write_b128 v156, v[104:107] offset:416
	;; [unrolled: 1-line block ×10, first 2 shown]
	s_waitcnt lgkmcnt(0)
	s_barrier
	s_and_saveexec_b64 s[8:9], s[0:1]
	s_cbranch_execz .LBB0_9
; %bb.8:
	ds_read_b128 v[96:99], v255
	ds_read_b128 v[100:103], v255 offset:2288
	ds_read_b128 v[104:107], v255 offset:4576
	;; [unrolled: 1-line block ×12, first 2 shown]
.LBB0_9:
	s_or_b64 exec, exec, s[8:9]
	v_add_u32_e32 v20, 0xffffff71, v203
	v_cndmask_b32_e64 v20, v20, v203, s[0:1]
	v_mul_hi_i32_i24_e32 v21, 0xc0, v20
	v_mul_i32_i24_e32 v20, 0xc0, v20
	v_mov_b32_e32 v22, s3
	v_add_co_u32_e32 v64, vcc, s2, v20
	v_addc_co_u32_e32 v65, vcc, v22, v21, vcc
	global_load_dwordx4 v[24:27], v[64:65], off offset:2080
	global_load_dwordx4 v[20:23], v[64:65], off offset:2096
	;; [unrolled: 1-line block ×11, first 2 shown]
	s_nop 0
	global_load_dwordx4 v[64:67], v[64:65], off offset:2256
	s_mov_b32 s19, 0xbfddbe06
	s_mov_b32 s18, 0x4267c47c
	;; [unrolled: 1-line block ×30, first 2 shown]
	s_waitcnt vmcnt(11) lgkmcnt(11)
	v_mul_f64 v[140:141], v[102:103], v[26:27]
	v_mul_f64 v[142:143], v[100:101], v[26:27]
	s_waitcnt vmcnt(10) lgkmcnt(10)
	v_mul_f64 v[144:145], v[106:107], v[22:23]
	v_mul_f64 v[146:147], v[104:105], v[22:23]
	;; [unrolled: 3-line block ×4, first 2 shown]
	v_fma_f64 v[140:141], v[100:101], v[24:25], -v[140:141]
	buffer_store_dword v24, off, s[52:55], 0 offset:32 ; 4-byte Folded Spill
	s_nop 0
	buffer_store_dword v25, off, s[52:55], 0 offset:36 ; 4-byte Folded Spill
	buffer_store_dword v26, off, s[52:55], 0 offset:40 ; 4-byte Folded Spill
	buffer_store_dword v27, off, s[52:55], 0 offset:44 ; 4-byte Folded Spill
	v_fma_f64 v[144:145], v[104:105], v[20:21], -v[144:145]
	buffer_store_dword v20, off, s[52:55], 0 offset:16 ; 4-byte Folded Spill
	s_nop 0
	buffer_store_dword v21, off, s[52:55], 0 offset:20 ; 4-byte Folded Spill
	buffer_store_dword v22, off, s[52:55], 0 offset:24 ; 4-byte Folded Spill
	buffer_store_dword v23, off, s[52:55], 0 offset:28 ; 4-byte Folded Spill
	;; [unrolled: 6-line block ×4, first 2 shown]
	s_waitcnt vmcnt(22) lgkmcnt(6)
	v_mul_f64 v[161:162], v[134:135], v[86:87]
	v_mul_f64 v[163:164], v[132:133], v[86:87]
	;; [unrolled: 1-line block ×4, first 2 shown]
	s_waitcnt vmcnt(21) lgkmcnt(5)
	v_mul_f64 v[165:166], v[138:139], v[82:83]
	v_mul_f64 v[167:168], v[136:137], v[82:83]
	s_waitcnt vmcnt(20) lgkmcnt(4)
	v_mul_f64 v[169:170], v[130:131], v[70:71]
	v_mul_f64 v[171:172], v[128:129], v[70:71]
	v_fma_f64 v[100:101], v[132:133], v[84:85], -v[161:162]
	v_add_f64 v[132:133], v[96:97], v[140:141]
	v_fma_f64 v[124:125], v[124:125], v[72:73], -v[157:158]
	v_fma_f64 v[126:127], v[126:127], v[72:73], v[159:160]
	v_fma_f64 v[104:105], v[136:137], v[80:81], -v[165:166]
	s_waitcnt vmcnt(19) lgkmcnt(3)
	v_mul_f64 v[173:174], v[114:115], v[78:79]
	v_mul_f64 v[175:176], v[112:113], v[78:79]
	s_waitcnt vmcnt(16) lgkmcnt(0)
	v_mul_f64 v[185:186], v[94:95], v[66:67]
	v_mul_f64 v[187:188], v[92:93], v[66:67]
	v_add_f64 v[132:133], v[132:133], v[144:145]
	v_fma_f64 v[128:129], v[128:129], v[68:69], -v[169:170]
	v_fma_f64 v[130:131], v[130:131], v[68:69], v[171:172]
	v_mul_f64 v[177:178], v[118:119], v[58:59]
	v_mul_f64 v[179:180], v[116:117], v[58:59]
	;; [unrolled: 1-line block ×4, first 2 shown]
	v_fma_f64 v[112:113], v[112:113], v[76:77], -v[173:174]
	v_add_f64 v[132:133], v[132:133], v[108:109]
	v_fma_f64 v[114:115], v[114:115], v[76:77], v[175:176]
	v_fma_f64 v[92:93], v[92:93], v[64:65], -v[185:186]
	v_fma_f64 v[94:95], v[94:95], v[64:65], v[187:188]
	v_fma_f64 v[116:117], v[116:117], v[56:57], -v[177:178]
	;; [unrolled: 2-line block ×3, first 2 shown]
	v_fma_f64 v[90:91], v[90:91], v[60:61], v[183:184]
	v_add_f64 v[132:133], v[132:133], v[120:121]
	v_add_f64 v[136:137], v[140:141], v[92:93]
	v_add_f64 v[140:141], v[140:141], -v[92:93]
	v_add_f64 v[148:149], v[144:145], v[88:89]
	v_add_f64 v[152:153], v[144:145], -v[88:89]
	v_add_f64 v[132:133], v[132:133], v[124:125]
	v_mul_f64 v[159:160], v[140:141], s[28:29]
	v_mul_f64 v[171:172], v[140:141], s[24:25]
	;; [unrolled: 1-line block ×3, first 2 shown]
	v_add_f64 v[132:133], v[132:133], v[100:101]
	v_add_f64 v[132:133], v[132:133], v[104:105]
	;; [unrolled: 1-line block ×3, first 2 shown]
	v_fma_f64 v[142:143], v[102:103], v[24:25], v[142:143]
	v_fma_f64 v[102:103], v[134:135], v[84:85], v[163:164]
	;; [unrolled: 1-line block ×5, first 2 shown]
	v_add_f64 v[132:133], v[132:133], v[112:113]
	v_fma_f64 v[122:123], v[122:123], v[52:53], v[154:155]
	v_mul_f64 v[163:164], v[140:141], s[34:35]
	v_add_f64 v[134:135], v[98:99], v[142:143]
	v_add_f64 v[138:139], v[142:143], v[94:95]
	v_add_f64 v[142:143], v[142:143], -v[94:95]
	v_add_f64 v[150:151], v[146:147], v[90:91]
	v_add_f64 v[154:155], v[146:147], -v[90:91]
	v_add_f64 v[132:133], v[132:133], v[116:117]
	v_mul_f64 v[167:168], v[140:141], s[20:21]
	v_add_f64 v[134:135], v[134:135], v[146:147]
	v_mul_f64 v[146:147], v[140:141], s[18:19]
	v_mul_f64 v[144:145], v[142:143], s[18:19]
	;; [unrolled: 1-line block ×7, first 2 shown]
	v_add_f64 v[134:135], v[134:135], v[110:111]
	v_mul_f64 v[140:141], v[140:141], s[30:31]
	v_mul_f64 v[173:174], v[154:155], s[28:29]
	v_fma_f64 v[177:178], v[136:137], s[10:11], -v[144:145]
	v_fma_f64 v[179:180], v[138:139], s[10:11], v[146:147]
	v_add_f64 v[88:89], v[132:133], v[88:89]
	v_fma_f64 v[144:145], v[136:137], s[10:11], v[144:145]
	v_fma_f64 v[146:147], v[138:139], s[10:11], -v[146:147]
	v_add_f64 v[134:135], v[134:135], v[122:123]
	v_fma_f64 v[181:182], v[136:137], s[8:9], -v[157:158]
	v_fma_f64 v[183:184], v[138:139], s[8:9], v[159:160]
	v_fma_f64 v[157:158], v[136:137], s[8:9], v[157:158]
	v_fma_f64 v[159:160], v[138:139], s[8:9], -v[159:160]
	v_fma_f64 v[185:186], v[136:137], s[2:3], -v[161:162]
	v_fma_f64 v[187:188], v[138:139], s[2:3], v[163:164]
	v_fma_f64 v[161:162], v[136:137], s[2:3], v[161:162]
	v_add_f64 v[134:135], v[134:135], v[126:127]
	v_fma_f64 v[163:164], v[138:139], s[2:3], -v[163:164]
	v_fma_f64 v[189:190], v[136:137], s[16:17], -v[165:166]
	v_fma_f64 v[191:192], v[138:139], s[16:17], v[167:168]
	v_fma_f64 v[165:166], v[136:137], s[16:17], v[165:166]
	v_fma_f64 v[167:168], v[138:139], s[16:17], -v[167:168]
	v_fma_f64 v[193:194], v[136:137], s[22:23], -v[169:170]
	v_fma_f64 v[195:196], v[138:139], s[22:23], v[171:172]
	v_add_f64 v[134:135], v[134:135], v[102:103]
	v_fma_f64 v[169:170], v[136:137], s[22:23], v[169:170]
	v_fma_f64 v[171:172], v[138:139], s[22:23], -v[171:172]
	v_fma_f64 v[197:198], v[136:137], s[26:27], -v[142:143]
	v_fma_f64 v[199:200], v[138:139], s[26:27], v[140:141]
	v_fma_f64 v[136:137], v[136:137], s[26:27], v[142:143]
	v_fma_f64 v[138:139], v[138:139], s[26:27], -v[140:141]
	v_fma_f64 v[140:141], v[148:149], s[8:9], -v[173:174]
	v_add_f64 v[134:135], v[134:135], v[106:107]
	v_fma_f64 v[142:143], v[150:151], s[8:9], v[175:176]
	v_add_f64 v[177:178], v[96:97], v[177:178]
	v_add_f64 v[179:180], v[98:99], v[179:180]
	;; [unrolled: 1-line block ×3, first 2 shown]
	v_mul_f64 v[92:93], v[154:155], s[20:21]
	v_add_f64 v[144:145], v[96:97], v[144:145]
	v_add_f64 v[146:147], v[98:99], v[146:147]
	;; [unrolled: 1-line block ×23, first 2 shown]
	v_mul_f64 v[140:141], v[154:155], s[30:31]
	v_fma_f64 v[173:174], v[148:149], s[8:9], v[173:174]
	v_fma_f64 v[175:176], v[150:151], s[8:9], -v[175:176]
	v_add_f64 v[90:91], v[134:135], v[90:91]
	v_add_f64 v[134:135], v[98:99], v[171:172]
	;; [unrolled: 1-line block ×5, first 2 shown]
	v_mul_f64 v[142:143], v[152:153], s[30:31]
	v_fma_f64 v[177:178], v[148:149], s[16:17], -v[92:93]
	v_fma_f64 v[92:93], v[148:149], s[16:17], v[92:93]
	v_add_f64 v[90:91], v[90:91], v[94:95]
	v_mul_f64 v[94:95], v[152:153], s[20:21]
	v_fma_f64 v[197:198], v[148:149], s[26:27], -v[140:141]
	v_add_f64 v[144:145], v[173:174], v[144:145]
	v_add_f64 v[146:147], v[175:176], v[146:147]
	v_fma_f64 v[199:200], v[150:151], s[26:27], v[142:143]
	v_add_f64 v[173:174], v[177:178], v[181:182]
	v_mul_f64 v[177:178], v[154:155], s[38:39]
	v_add_f64 v[92:93], v[92:93], v[157:158]
	v_fma_f64 v[179:180], v[150:151], s[16:17], v[94:95]
	v_fma_f64 v[94:95], v[150:151], s[16:17], -v[94:95]
	v_add_f64 v[157:158], v[197:198], v[185:186]
	v_fma_f64 v[142:143], v[150:151], s[26:27], -v[142:143]
	s_mov_b32 s19, 0x3fddbe06
	v_mul_f64 v[181:182], v[154:155], s[36:37]
	v_fma_f64 v[185:186], v[148:149], s[22:23], -v[177:178]
	v_fma_f64 v[140:141], v[148:149], s[26:27], v[140:141]
	v_add_f64 v[175:176], v[179:180], v[183:184]
	v_mul_f64 v[179:180], v[152:153], s[38:39]
	v_add_f64 v[94:95], v[94:95], v[159:160]
	v_add_f64 v[159:160], v[199:200], v[187:188]
	;; [unrolled: 1-line block ×3, first 2 shown]
	v_mul_f64 v[183:184], v[152:153], s[36:37]
	v_add_f64 v[163:164], v[185:186], v[189:190]
	v_mul_f64 v[154:155], v[154:155], s[18:19]
	v_mul_f64 v[152:153], v[152:153], s[18:19]
	v_fma_f64 v[187:188], v[150:151], s[22:23], v[179:180]
	v_fma_f64 v[179:180], v[150:151], s[22:23], -v[179:180]
	v_fma_f64 v[177:178], v[148:149], s[22:23], v[177:178]
	v_fma_f64 v[197:198], v[148:149], s[2:3], -v[181:182]
	v_add_f64 v[140:141], v[140:141], v[161:162]
	v_fma_f64 v[161:162], v[150:151], s[2:3], v[183:184]
	v_fma_f64 v[181:182], v[148:149], s[2:3], v[181:182]
	v_fma_f64 v[183:184], v[150:151], s[2:3], -v[183:184]
	v_add_f64 v[185:186], v[187:188], v[191:192]
	v_add_f64 v[167:168], v[179:180], v[167:168]
	v_add_f64 v[179:180], v[110:111], -v[118:119]
	v_add_f64 v[187:188], v[108:109], -v[116:117]
	v_add_f64 v[108:109], v[108:109], v[116:117]
	v_add_f64 v[110:111], v[110:111], v[118:119]
	v_fma_f64 v[189:190], v[148:149], s[10:11], -v[154:155]
	v_fma_f64 v[191:192], v[150:151], s[10:11], v[152:153]
	v_fma_f64 v[148:149], v[148:149], s[10:11], v[154:155]
	v_fma_f64 v[150:151], v[150:151], s[10:11], -v[152:153]
	v_mul_f64 v[116:117], v[179:180], s[34:35]
	v_mul_f64 v[118:119], v[187:188], s[34:35]
	v_add_f64 v[132:133], v[181:182], v[132:133]
	v_add_f64 v[134:135], v[183:184], v[134:135]
	;; [unrolled: 1-line block ×6, first 2 shown]
	v_fma_f64 v[152:153], v[108:109], s[2:3], -v[116:117]
	v_fma_f64 v[154:155], v[110:111], s[2:3], v[118:119]
	v_mul_f64 v[148:149], v[179:180], s[30:31]
	v_mul_f64 v[150:151], v[187:188], s[30:31]
	v_fma_f64 v[116:117], v[108:109], s[2:3], v[116:117]
	v_fma_f64 v[118:119], v[110:111], s[2:3], -v[118:119]
	v_add_f64 v[161:162], v[161:162], v[195:196]
	v_add_f64 v[169:170], v[189:190], v[169:170]
	;; [unrolled: 1-line block ×4, first 2 shown]
	v_mul_f64 v[152:153], v[179:180], s[40:41]
	v_mul_f64 v[154:155], v[187:188], s[40:41]
	v_fma_f64 v[181:182], v[108:109], s[26:27], -v[148:149]
	v_fma_f64 v[183:184], v[110:111], s[26:27], v[150:151]
	v_fma_f64 v[148:149], v[108:109], s[26:27], v[148:149]
	v_fma_f64 v[150:151], v[110:111], s[26:27], -v[150:151]
	v_add_f64 v[116:117], v[116:117], v[144:145]
	v_add_f64 v[118:119], v[118:119], v[146:147]
	v_fma_f64 v[144:145], v[108:109], s[16:17], -v[152:153]
	v_fma_f64 v[146:147], v[110:111], s[16:17], v[154:155]
	v_fma_f64 v[152:153], v[108:109], s[16:17], v[152:153]
	v_fma_f64 v[154:155], v[110:111], s[16:17], -v[154:155]
	v_add_f64 v[92:93], v[148:149], v[92:93]
	v_add_f64 v[94:95], v[150:151], v[94:95]
	v_mul_f64 v[148:149], v[179:180], s[18:19]
	v_mul_f64 v[150:151], v[187:188], s[18:19]
	v_add_f64 v[144:145], v[144:145], v[157:158]
	v_add_f64 v[146:147], v[146:147], v[159:160]
	v_mul_f64 v[157:158], v[179:180], s[28:29]
	v_mul_f64 v[159:160], v[187:188], s[28:29]
	v_add_f64 v[173:174], v[181:182], v[173:174]
	v_add_f64 v[175:176], v[183:184], v[175:176]
	v_fma_f64 v[181:182], v[108:109], s[10:11], -v[148:149]
	v_fma_f64 v[183:184], v[110:111], s[10:11], v[150:151]
	v_fma_f64 v[148:149], v[108:109], s[10:11], v[148:149]
	v_fma_f64 v[150:151], v[110:111], s[10:11], -v[150:151]
	v_add_f64 v[140:141], v[152:153], v[140:141]
	v_add_f64 v[142:143], v[154:155], v[142:143]
	v_fma_f64 v[152:153], v[108:109], s[8:9], -v[157:158]
	v_fma_f64 v[154:155], v[110:111], s[8:9], v[159:160]
	v_add_f64 v[163:164], v[181:182], v[163:164]
	v_add_f64 v[181:182], v[183:184], v[185:186]
	;; [unrolled: 1-line block ×4, first 2 shown]
	v_mul_f64 v[165:166], v[179:180], s[24:25]
	v_mul_f64 v[167:168], v[187:188], s[24:25]
	v_add_f64 v[152:153], v[152:153], v[177:178]
	v_add_f64 v[154:155], v[154:155], v[161:162]
	v_add_f64 v[161:162], v[122:123], -v[114:115]
	v_add_f64 v[177:178], v[120:121], -v[112:113]
	v_fma_f64 v[157:158], v[108:109], s[8:9], v[157:158]
	v_fma_f64 v[159:160], v[110:111], s[8:9], -v[159:160]
	v_fma_f64 v[179:180], v[108:109], s[22:23], -v[165:166]
	v_fma_f64 v[183:184], v[110:111], s[22:23], v[167:168]
	v_add_f64 v[112:113], v[120:121], v[112:113]
	v_add_f64 v[114:115], v[122:123], v[114:115]
	v_mul_f64 v[120:121], v[161:162], s[20:21]
	v_mul_f64 v[122:123], v[177:178], s[20:21]
	v_fma_f64 v[108:109], v[108:109], s[22:23], v[165:166]
	v_fma_f64 v[110:111], v[110:111], s[22:23], -v[167:168]
	v_add_f64 v[171:172], v[191:192], v[171:172]
	v_add_f64 v[132:133], v[157:158], v[132:133]
	;; [unrolled: 1-line block ×4, first 2 shown]
	v_fma_f64 v[165:166], v[112:113], s[16:17], -v[120:121]
	v_fma_f64 v[167:168], v[114:115], s[16:17], v[122:123]
	v_add_f64 v[96:97], v[108:109], v[96:97]
	v_add_f64 v[98:99], v[110:111], v[98:99]
	v_mul_f64 v[108:109], v[161:162], s[38:39]
	v_mul_f64 v[110:111], v[177:178], s[38:39]
	v_add_f64 v[159:160], v[183:184], v[171:172]
	v_fma_f64 v[120:121], v[112:113], s[16:17], v[120:121]
	v_fma_f64 v[122:123], v[114:115], s[16:17], -v[122:123]
	v_add_f64 v[136:137], v[165:166], v[136:137]
	v_add_f64 v[138:139], v[167:168], v[138:139]
	v_mul_f64 v[165:166], v[161:162], s[18:19]
	v_mul_f64 v[167:168], v[177:178], s[18:19]
	v_fma_f64 v[169:170], v[112:113], s[22:23], -v[108:109]
	v_fma_f64 v[171:172], v[114:115], s[22:23], v[110:111]
	v_add_f64 v[116:117], v[120:121], v[116:117]
	v_add_f64 v[118:119], v[122:123], v[118:119]
	v_fma_f64 v[108:109], v[112:113], s[22:23], v[108:109]
	v_fma_f64 v[110:111], v[114:115], s[22:23], -v[110:111]
	v_fma_f64 v[120:121], v[112:113], s[10:11], -v[165:166]
	v_fma_f64 v[122:123], v[114:115], s[10:11], v[167:168]
	v_add_f64 v[169:170], v[169:170], v[173:174]
	v_add_f64 v[171:172], v[171:172], v[175:176]
	v_mul_f64 v[173:174], v[161:162], s[34:35]
	v_mul_f64 v[175:176], v[177:178], s[34:35]
	s_mov_b32 s39, 0x3fcea1e5
	s_mov_b32 s38, s30
	v_add_f64 v[92:93], v[108:109], v[92:93]
	v_add_f64 v[94:95], v[110:111], v[94:95]
	;; [unrolled: 1-line block ×4, first 2 shown]
	v_fma_f64 v[120:121], v[112:113], s[10:11], v[165:166]
	v_fma_f64 v[122:123], v[114:115], s[10:11], -v[167:168]
	v_fma_f64 v[144:145], v[112:113], s[2:3], -v[173:174]
	v_fma_f64 v[146:147], v[114:115], s[2:3], v[175:176]
	v_mul_f64 v[165:166], v[161:162], s[38:39]
	v_mul_f64 v[167:168], v[177:178], s[38:39]
	s_mov_b32 s35, 0x3fea55e2
	s_mov_b32 s34, s28
	v_add_f64 v[120:121], v[120:121], v[140:141]
	v_add_f64 v[122:123], v[122:123], v[142:143]
	;; [unrolled: 1-line block ×4, first 2 shown]
	v_fma_f64 v[144:145], v[112:113], s[26:27], -v[165:166]
	v_fma_f64 v[146:147], v[114:115], s[26:27], v[167:168]
	v_fma_f64 v[173:174], v[112:113], s[2:3], v[173:174]
	v_fma_f64 v[175:176], v[114:115], s[2:3], -v[175:176]
	v_mul_f64 v[161:162], v[161:162], s[34:35]
	v_mul_f64 v[163:164], v[177:178], s[34:35]
	v_fma_f64 v[165:166], v[112:113], s[26:27], v[165:166]
	v_fma_f64 v[167:168], v[114:115], s[26:27], -v[167:168]
	v_add_f64 v[144:145], v[144:145], v[152:153]
	v_add_f64 v[146:147], v[146:147], v[154:155]
	v_add_f64 v[152:153], v[126:127], -v[130:131]
	v_add_f64 v[154:155], v[124:125], -v[128:129]
	v_add_f64 v[148:149], v[173:174], v[148:149]
	v_add_f64 v[150:151], v[175:176], v[150:151]
	v_fma_f64 v[173:174], v[112:113], s[8:9], -v[161:162]
	v_fma_f64 v[175:176], v[114:115], s[8:9], v[163:164]
	v_add_f64 v[124:125], v[124:125], v[128:129]
	v_add_f64 v[126:127], v[126:127], v[130:131]
	v_mul_f64 v[128:129], v[152:153], s[24:25]
	v_mul_f64 v[130:131], v[154:155], s[24:25]
	v_fma_f64 v[112:113], v[112:113], s[8:9], v[161:162]
	v_fma_f64 v[114:115], v[114:115], s[8:9], -v[163:164]
	v_add_f64 v[132:133], v[165:166], v[132:133]
	v_add_f64 v[134:135], v[167:168], v[134:135]
	;; [unrolled: 1-line block ×4, first 2 shown]
	v_fma_f64 v[161:162], v[124:125], s[22:23], -v[128:129]
	v_fma_f64 v[163:164], v[126:127], s[22:23], v[130:131]
	v_add_f64 v[96:97], v[112:113], v[96:97]
	v_add_f64 v[98:99], v[114:115], v[98:99]
	v_mul_f64 v[112:113], v[152:153], s[36:37]
	v_mul_f64 v[114:115], v[154:155], s[36:37]
	v_fma_f64 v[128:129], v[124:125], s[22:23], v[128:129]
	v_fma_f64 v[130:131], v[126:127], s[22:23], -v[130:131]
	v_add_f64 v[136:137], v[161:162], v[136:137]
	v_add_f64 v[138:139], v[163:164], v[138:139]
	v_mul_f64 v[161:162], v[152:153], s[28:29]
	v_mul_f64 v[163:164], v[154:155], s[28:29]
	v_fma_f64 v[165:166], v[124:125], s[2:3], -v[112:113]
	v_fma_f64 v[167:168], v[126:127], s[2:3], v[114:115]
	v_add_f64 v[116:117], v[128:129], v[116:117]
	v_add_f64 v[118:119], v[130:131], v[118:119]
	v_fma_f64 v[112:113], v[124:125], s[2:3], v[112:113]
	v_fma_f64 v[114:115], v[126:127], s[2:3], -v[114:115]
	v_fma_f64 v[128:129], v[124:125], s[8:9], -v[161:162]
	v_fma_f64 v[130:131], v[126:127], s[8:9], v[163:164]
	v_add_f64 v[165:166], v[165:166], v[169:170]
	v_add_f64 v[167:168], v[167:168], v[171:172]
	v_mul_f64 v[169:170], v[152:153], s[38:39]
	v_mul_f64 v[171:172], v[154:155], s[38:39]
	v_add_f64 v[112:113], v[112:113], v[92:93]
	v_add_f64 v[114:115], v[114:115], v[94:95]
	;; [unrolled: 1-line block ×4, first 2 shown]
	v_fma_f64 v[92:93], v[124:125], s[8:9], v[161:162]
	v_fma_f64 v[94:95], v[126:127], s[8:9], -v[163:164]
	v_fma_f64 v[128:129], v[124:125], s[26:27], -v[169:170]
	v_fma_f64 v[130:131], v[126:127], s[26:27], v[171:172]
	v_mul_f64 v[161:162], v[152:153], s[18:19]
	v_mul_f64 v[163:164], v[154:155], s[18:19]
	v_fma_f64 v[169:170], v[124:125], s[26:27], v[169:170]
	v_fma_f64 v[171:172], v[126:127], s[26:27], -v[171:172]
	v_add_f64 v[120:121], v[92:93], v[120:121]
	v_add_f64 v[122:123], v[94:95], v[122:123]
	;; [unrolled: 1-line block ×4, first 2 shown]
	v_fma_f64 v[92:93], v[124:125], s[10:11], -v[161:162]
	v_fma_f64 v[94:95], v[126:127], s[10:11], v[163:164]
	v_add_f64 v[140:141], v[169:170], v[148:149]
	v_add_f64 v[142:143], v[171:172], v[150:151]
	v_fma_f64 v[148:149], v[124:125], s[10:11], v[161:162]
	v_fma_f64 v[150:151], v[126:127], s[10:11], -v[163:164]
	v_mul_f64 v[152:153], v[152:153], s[20:21]
	v_mul_f64 v[154:155], v[154:155], s[20:21]
	v_add_f64 v[161:162], v[102:103], -v[106:107]
	v_add_f64 v[163:164], v[100:101], -v[104:105]
	v_add_f64 v[144:145], v[92:93], v[144:145]
	v_add_f64 v[146:147], v[94:95], v[146:147]
	;; [unrolled: 1-line block ×4, first 2 shown]
	v_fma_f64 v[92:93], v[124:125], s[16:17], -v[152:153]
	v_fma_f64 v[94:95], v[126:127], s[16:17], v[154:155]
	v_add_f64 v[148:149], v[100:101], v[104:105]
	v_add_f64 v[150:151], v[102:103], v[106:107]
	v_mul_f64 v[100:101], v[161:162], s[30:31]
	v_mul_f64 v[102:103], v[163:164], s[30:31]
	v_fma_f64 v[104:105], v[124:125], s[16:17], v[152:153]
	v_fma_f64 v[106:107], v[126:127], s[16:17], -v[154:155]
	v_add_f64 v[152:153], v[92:93], v[157:158]
	v_add_f64 v[154:155], v[94:95], v[159:160]
	v_mul_f64 v[124:125], v[161:162], s[18:19]
	v_mul_f64 v[126:127], v[163:164], s[18:19]
	v_fma_f64 v[92:93], v[148:149], s[26:27], -v[100:101]
	v_fma_f64 v[94:95], v[150:151], s[26:27], v[102:103]
	v_add_f64 v[157:158], v[104:105], v[96:97]
	v_add_f64 v[159:160], v[106:107], v[98:99]
	v_fma_f64 v[96:97], v[148:149], s[26:27], v[100:101]
	v_fma_f64 v[98:99], v[150:151], s[26:27], -v[102:103]
	v_fma_f64 v[100:101], v[148:149], s[10:11], -v[124:125]
	v_fma_f64 v[102:103], v[150:151], s[10:11], v[126:127]
	v_add_f64 v[92:93], v[92:93], v[136:137]
	v_add_f64 v[94:95], v[94:95], v[138:139]
	v_mul_f64 v[136:137], v[161:162], s[24:25]
	v_mul_f64 v[138:139], v[163:164], s[24:25]
	v_add_f64 v[104:105], v[96:97], v[116:117]
	v_add_f64 v[106:107], v[98:99], v[118:119]
	;; [unrolled: 1-line block ×4, first 2 shown]
	v_fma_f64 v[100:101], v[148:149], s[10:11], v[124:125]
	v_fma_f64 v[102:103], v[150:151], s[10:11], -v[126:127]
	v_fma_f64 v[116:117], v[148:149], s[22:23], -v[136:137]
	v_fma_f64 v[118:119], v[150:151], s[22:23], v[138:139]
	v_mul_f64 v[124:125], v[161:162], s[34:35]
	v_mul_f64 v[126:127], v[163:164], s[34:35]
	v_fma_f64 v[136:137], v[148:149], s[22:23], v[136:137]
	v_fma_f64 v[138:139], v[150:151], s[22:23], -v[138:139]
	v_add_f64 v[112:113], v[100:101], v[112:113]
	v_add_f64 v[114:115], v[102:103], v[114:115]
	;; [unrolled: 1-line block ×4, first 2 shown]
	v_fma_f64 v[108:109], v[148:149], s[8:9], -v[124:125]
	v_fma_f64 v[110:111], v[150:151], s[8:9], v[126:127]
	v_add_f64 v[116:117], v[136:137], v[120:121]
	v_add_f64 v[118:119], v[138:139], v[122:123]
	v_fma_f64 v[120:121], v[148:149], s[8:9], v[124:125]
	v_fma_f64 v[122:123], v[150:151], s[8:9], -v[126:127]
	v_mul_f64 v[124:125], v[161:162], s[20:21]
	v_mul_f64 v[126:127], v[163:164], s[20:21]
	v_add_f64 v[108:109], v[108:109], v[128:129]
	v_add_f64 v[110:111], v[110:111], v[130:131]
	v_mul_f64 v[128:129], v[161:162], s[36:37]
	v_mul_f64 v[130:131], v[163:164], s[36:37]
	v_add_f64 v[120:121], v[120:121], v[140:141]
	v_add_f64 v[122:123], v[122:123], v[142:143]
	v_fma_f64 v[136:137], v[148:149], s[16:17], -v[124:125]
	v_fma_f64 v[138:139], v[150:151], s[16:17], v[126:127]
	v_fma_f64 v[140:141], v[148:149], s[16:17], v[124:125]
	v_fma_f64 v[142:143], v[150:151], s[16:17], -v[126:127]
	v_fma_f64 v[161:162], v[148:149], s[2:3], -v[128:129]
	v_fma_f64 v[163:164], v[150:151], s[2:3], v[130:131]
	v_fma_f64 v[148:149], v[148:149], s[2:3], v[128:129]
	v_fma_f64 v[150:151], v[150:151], s[2:3], -v[130:131]
	v_add_f64 v[124:125], v[136:137], v[144:145]
	v_add_f64 v[126:127], v[138:139], v[146:147]
	;; [unrolled: 1-line block ×8, first 2 shown]
	s_and_saveexec_b64 s[2:3], s[0:1]
	s_cbranch_execz .LBB0_11
; %bb.10:
	ds_write_b128 v255, v[88:91]
	ds_write_b128 v255, v[92:95] offset:2288
	ds_write_b128 v255, v[96:99] offset:4576
	;; [unrolled: 1-line block ×12, first 2 shown]
.LBB0_11:
	s_or_b64 exec, exec, s[2:3]
	s_waitcnt vmcnt(0) lgkmcnt(0)
	s_barrier
	s_and_saveexec_b64 s[8:9], s[0:1]
	s_cbranch_execz .LBB0_13
; %bb.12:
	v_mov_b32_e32 v20, s15
	v_add_co_u32_e32 v21, vcc, s14, v255
	v_addc_co_u32_e32 v20, vcc, 0, v20, vcc
	v_add_co_u32_e32 v169, vcc, 0x7430, v21
	s_mov_b64 s[2:3], vcc
	v_add_co_u32_e32 v140, vcc, 0x7000, v21
	v_addc_co_u32_e32 v141, vcc, 0, v20, vcc
	s_mov_b32 s10, 0x8000
	v_add_co_u32_e32 v148, vcc, s10, v21
	v_addc_co_u32_e32 v149, vcc, 0, v20, vcc
	global_load_dwordx4 v[140:143], v[140:141], off offset:1072
	s_nop 0
	global_load_dwordx4 v[144:147], v[148:149], off offset:1552
	s_nop 0
	global_load_dwordx4 v[148:151], v[148:149], off offset:3840
	s_mov_b32 s10, 0x9000
	v_add_co_u32_e32 v152, vcc, s10, v21
	v_addc_co_u32_e32 v153, vcc, 0, v20, vcc
	s_mov_b32 s10, 0xa000
	v_add_co_u32_e32 v161, vcc, s10, v21
	v_addc_co_u32_e32 v162, vcc, 0, v20, vcc
	s_mov_b32 s10, 0xb000
	v_add_co_u32_e32 v173, vcc, s10, v21
	global_load_dwordx4 v[152:155], v[152:153], off offset:2032
	s_nop 0
	global_load_dwordx4 v[157:160], v[161:162], off offset:224
	s_nop 0
	global_load_dwordx4 v[161:164], v[161:162], off offset:2512
	v_addc_co_u32_e32 v174, vcc, 0, v20, vcc
	v_addc_co_u32_e64 v170, vcc, 0, v20, s[2:3]
	global_load_dwordx4 v[165:168], v[173:174], off offset:704
	s_nop 0
	global_load_dwordx4 v[169:172], v[169:170], off offset:2288
	s_nop 0
	global_load_dwordx4 v[173:176], v[173:174], off offset:2992
	s_mov_b32 s2, 0xc000
	v_add_co_u32_e32 v181, vcc, s2, v21
	v_addc_co_u32_e32 v182, vcc, 0, v20, vcc
	s_mov_b32 s2, 0xd000
	global_load_dwordx4 v[177:180], v[181:182], off offset:1184
	s_nop 0
	global_load_dwordx4 v[181:184], v[181:182], off offset:3472
	v_add_co_u32_e32 v189, vcc, s2, v21
	v_addc_co_u32_e32 v190, vcc, 0, v20, vcc
	global_load_dwordx4 v[185:188], v[189:190], off offset:1664
	s_nop 0
	global_load_dwordx4 v[189:192], v[189:190], off offset:3952
	ds_read_b128 v[193:196], v255
	ds_read_b128 v[197:200], v255 offset:2288
	ds_read_b128 v[201:204], v255 offset:4576
	;; [unrolled: 1-line block ×9, first 2 shown]
	s_waitcnt vmcnt(12) lgkmcnt(9)
	v_mul_f64 v[245:246], v[195:196], v[142:143]
	s_waitcnt vmcnt(11) lgkmcnt(7)
	v_mul_f64 v[233:234], v[203:204], v[146:147]
	v_mul_f64 v[146:147], v[201:202], v[146:147]
	;; [unrolled: 1-line block ×3, first 2 shown]
	s_waitcnt vmcnt(10) lgkmcnt(6)
	v_mul_f64 v[235:236], v[207:208], v[150:151]
	v_mul_f64 v[150:151], v[205:206], v[150:151]
	v_fma_f64 v[193:194], v[193:194], v[140:141], -v[245:246]
	v_fma_f64 v[142:143], v[201:202], v[144:145], -v[233:234]
	v_fma_f64 v[144:145], v[203:204], v[144:145], v[146:147]
	buffer_load_dword v203, off, s[52:55], 0 offset:8 ; 4-byte Folded Reload
	v_fma_f64 v[146:147], v[205:206], v[148:149], -v[235:236]
	s_waitcnt vmcnt(10) lgkmcnt(5)
	v_mul_f64 v[237:238], v[211:212], v[154:155]
	v_mul_f64 v[154:155], v[209:210], v[154:155]
	s_waitcnt vmcnt(9) lgkmcnt(4)
	v_mul_f64 v[239:240], v[215:216], v[159:160]
	v_mul_f64 v[159:160], v[213:214], v[159:160]
	v_fma_f64 v[148:149], v[207:208], v[148:149], v[150:151]
	s_waitcnt vmcnt(8) lgkmcnt(3)
	v_mul_f64 v[241:242], v[219:220], v[163:164]
	v_mul_f64 v[163:164], v[217:218], v[163:164]
	s_waitcnt vmcnt(6)
	v_mul_f64 v[249:250], v[199:200], v[171:172]
	v_mul_f64 v[171:172], v[197:198], v[171:172]
	v_fma_f64 v[150:151], v[209:210], v[152:153], -v[237:238]
	v_fma_f64 v[152:153], v[211:212], v[152:153], v[154:155]
	s_waitcnt lgkmcnt(2)
	v_mul_f64 v[243:244], v[223:224], v[167:168]
	v_fma_f64 v[195:196], v[195:196], v[140:141], v[247:248]
	v_mul_f64 v[154:155], v[221:222], v[167:168]
	s_waitcnt vmcnt(5) lgkmcnt(1)
	v_mul_f64 v[167:168], v[227:228], v[175:176]
	v_fma_f64 v[197:198], v[197:198], v[169:170], -v[249:250]
	v_fma_f64 v[199:200], v[199:200], v[169:170], v[171:172]
	v_mul_f64 v[169:170], v[225:226], v[175:176]
	ds_write_b128 v255, v[142:145] offset:4576
	ds_write_b128 v255, v[146:149] offset:6864
	;; [unrolled: 1-line block ×3, first 2 shown]
	ds_write_b128 v255, v[193:196]
	ds_write_b128 v255, v[197:200] offset:2288
	v_fma_f64 v[140:141], v[213:214], v[157:158], -v[239:240]
	v_fma_f64 v[142:143], v[215:216], v[157:158], v[159:160]
	ds_read_b128 v[157:160], v255 offset:22880
	v_fma_f64 v[144:145], v[217:218], v[161:162], -v[241:242]
	v_fma_f64 v[146:147], v[219:220], v[161:162], v[163:164]
	ds_read_b128 v[161:164], v255 offset:25168
	v_fma_f64 v[148:149], v[221:222], v[165:166], -v[243:244]
	v_fma_f64 v[150:151], v[223:224], v[165:166], v[154:155]
	v_fma_f64 v[152:153], v[225:226], v[173:174], -v[167:168]
	ds_read_b128 v[165:168], v255 offset:27456
	v_fma_f64 v[154:155], v[227:228], v[173:174], v[169:170]
	s_waitcnt vmcnt(4) lgkmcnt(8)
	v_mul_f64 v[169:170], v[231:232], v[179:180]
	v_mul_f64 v[171:172], v[229:230], v[179:180]
	s_waitcnt vmcnt(3) lgkmcnt(2)
	v_mul_f64 v[173:174], v[159:160], v[183:184]
	v_mul_f64 v[175:176], v[157:158], v[183:184]
	;; [unrolled: 3-line block ×4, first 2 shown]
	v_fma_f64 v[169:170], v[229:230], v[177:178], -v[169:170]
	v_fma_f64 v[171:172], v[231:232], v[177:178], v[171:172]
	v_fma_f64 v[157:158], v[157:158], v[181:182], -v[173:174]
	v_fma_f64 v[159:160], v[159:160], v[181:182], v[175:176]
	;; [unrolled: 2-line block ×4, first 2 shown]
	ds_write_b128 v255, v[140:143] offset:11440
	ds_write_b128 v255, v[144:147] offset:13728
	ds_write_b128 v255, v[148:151] offset:16016
	ds_write_b128 v255, v[152:155] offset:18304
	ds_write_b128 v255, v[169:172] offset:20592
	ds_write_b128 v255, v[157:160] offset:22880
	ds_write_b128 v255, v[161:164] offset:25168
	ds_write_b128 v255, v[165:168] offset:27456
.LBB0_13:
	s_or_b64 exec, exec, s[8:9]
	s_waitcnt vmcnt(0) lgkmcnt(0)
	s_barrier
	s_and_saveexec_b64 s[2:3], s[0:1]
	s_cbranch_execz .LBB0_15
; %bb.14:
	ds_read_b128 v[88:91], v255
	ds_read_b128 v[92:95], v255 offset:2288
	ds_read_b128 v[96:99], v255 offset:4576
	;; [unrolled: 1-line block ×12, first 2 shown]
.LBB0_15:
	s_or_b64 exec, exec, s[2:3]
	s_waitcnt lgkmcnt(0)
	v_add_f64 v[189:190], v[94:95], -v[106:107]
	s_mov_b32 s40, 0x4267c47c
	s_mov_b32 s41, 0xbfddbe06
	v_add_f64 v[157:158], v[92:93], v[104:105]
	v_add_f64 v[171:172], v[94:95], v[106:107]
	v_add_f64 v[205:206], v[98:99], -v[114:115]
	s_mov_b32 s2, 0xe00740e9
	s_mov_b32 s16, 0x42a4c3d2
	v_mul_f64 v[20:21], v[189:190], s[40:41]
	s_mov_b32 s3, 0x3fec55a7
	s_mov_b32 s17, 0xbfea55e2
	v_add_f64 v[187:188], v[92:93], -v[104:105]
	v_mul_f64 v[24:25], v[171:172], s[2:3]
	v_add_f64 v[165:166], v[96:97], v[112:113]
	v_add_f64 v[193:194], v[98:99], v[114:115]
	v_mul_f64 v[229:230], v[205:206], s[16:17]
	v_fma_f64 v[140:141], v[157:158], s[2:3], -v[20:21]
	s_mov_b32 s8, 0x1ea71119
	s_mov_b32 s9, 0x3fe22d96
	v_mul_f64 v[22:23], v[189:190], s[16:17]
	v_fma_f64 v[142:143], v[187:188], s[40:41], v[24:25]
	v_add_f64 v[207:208], v[96:97], -v[112:113]
	v_mul_f64 v[233:234], v[193:194], s[8:9]
	v_fma_f64 v[148:149], v[165:166], s[8:9], -v[229:230]
	v_add_f64 v[140:141], v[88:89], v[140:141]
	s_mov_b32 s23, 0xbfedeba7
	s_mov_b32 s22, 0x2ef20147
	v_mul_f64 v[34:35], v[171:172], s[8:9]
	v_add_f64 v[142:143], v[90:91], v[142:143]
	v_fma_f64 v[144:145], v[157:158], s[8:9], -v[22:23]
	v_mul_f64 v[52:53], v[205:206], s[22:23]
	s_mov_b32 s10, 0xb2365da1
	v_add_f64 v[140:141], v[148:149], v[140:141]
	v_fma_f64 v[148:149], v[207:208], s[16:17], v[233:234]
	s_mov_b32 s11, 0xbfd6b1d8
	v_fma_f64 v[146:147], v[187:188], s[16:17], v[34:35]
	v_mul_f64 v[54:55], v[193:194], s[10:11]
	v_add_f64 v[144:145], v[88:89], v[144:145]
	v_add_f64 v[217:218], v[102:103], -v[118:119]
	s_mov_b32 s26, 0x66966769
	s_mov_b32 s27, 0xbfefc445
	v_add_f64 v[142:143], v[148:149], v[142:143]
	v_fma_f64 v[148:149], v[165:166], s[10:11], -v[52:53]
	v_add_f64 v[146:147], v[90:91], v[146:147]
	v_add_f64 v[177:178], v[100:101], v[116:117]
	v_add_f64 v[185:186], v[102:103], v[118:119]
	v_mul_f64 v[150:151], v[217:218], s[26:27]
	s_mov_b32 s18, 0xebaa3ed8
	s_mov_b32 s19, 0x3fbedb7d
	v_add_f64 v[211:212], v[100:101], -v[116:117]
	v_add_f64 v[144:145], v[148:149], v[144:145]
	v_fma_f64 v[148:149], v[207:208], s[22:23], v[54:55]
	v_mul_f64 v[154:155], v[217:218], s[30:31]
	v_mul_f64 v[152:153], v[185:186], s[18:19]
	s_mov_b32 s20, 0x93053d00
	s_mov_b32 s21, 0xbfef11f4
	v_mul_f64 v[159:160], v[185:186], s[20:21]
	v_add_f64 v[239:240], v[110:111], -v[122:123]
	v_add_f64 v[195:196], v[108:109], v[120:121]
	v_add_f64 v[146:147], v[148:149], v[146:147]
	v_fma_f64 v[148:149], v[177:178], s[18:19], -v[150:151]
	v_add_f64 v[199:200], v[110:111], v[122:123]
	v_add_f64 v[227:228], v[108:109], -v[120:121]
	s_mov_b32 s38, 0x24c2f84
	s_mov_b32 s39, 0x3fe5384d
	v_mul_f64 v[161:162], v[239:240], s[22:23]
	v_mul_f64 v[167:168], v[239:240], s[38:39]
	s_mov_b32 s24, 0xd0032e0c
	v_add_f64 v[140:141], v[148:149], v[140:141]
	v_fma_f64 v[148:149], v[211:212], s[26:27], v[152:153]
	v_mul_f64 v[163:164], v[199:200], s[10:11]
	s_mov_b32 s25, 0xbfe7f3cc
	v_mul_f64 v[169:170], v[199:200], s[24:25]
	v_add_f64 v[251:252], v[126:127], -v[134:135]
	s_mov_b32 s35, 0xbfe5384d
	s_mov_b32 s34, s38
	v_add_f64 v[213:214], v[124:125], v[132:133]
	v_add_f64 v[142:143], v[148:149], v[142:143]
	v_fma_f64 v[148:149], v[177:178], s[20:21], -v[154:155]
	v_add_f64 v[219:220], v[126:127], v[134:135]
	v_add_f64 v[245:246], v[124:125], -v[132:133]
	v_mul_f64 v[173:174], v[251:252], s[34:35]
	s_mov_b32 s43, 0x3fefc445
	s_mov_b32 s42, s26
	v_mul_f64 v[179:180], v[251:252], s[42:43]
	v_add_f64 v[249:250], v[130:131], -v[138:139]
	v_add_f64 v[144:145], v[148:149], v[144:145]
	v_fma_f64 v[148:149], v[211:212], s[30:31], v[159:160]
	v_mul_f64 v[175:176], v[219:220], s[24:25]
	v_mul_f64 v[181:182], v[219:220], s[18:19]
	v_add_f64 v[231:232], v[128:129], v[136:137]
	v_add_f64 v[235:236], v[130:131], v[138:139]
	v_add_f64 v[253:254], v[128:129], -v[136:137]
	v_mul_f64 v[183:184], v[249:250], s[30:31]
	s_mov_b32 s37, 0x3fddbe06
	v_add_f64 v[146:147], v[148:149], v[146:147]
	v_fma_f64 v[148:149], v[195:196], s[10:11], -v[161:162]
	s_mov_b32 s36, s40
	v_mul_f64 v[241:242], v[249:250], s[36:37]
	v_mul_f64 v[237:238], v[235:236], s[20:21]
	;; [unrolled: 1-line block ×3, first 2 shown]
	s_barrier
	v_add_f64 v[140:141], v[148:149], v[140:141]
	v_fma_f64 v[148:149], v[227:228], s[22:23], v[163:164]
	v_add_f64 v[142:143], v[148:149], v[142:143]
	v_fma_f64 v[148:149], v[195:196], s[24:25], -v[167:168]
	v_add_f64 v[144:145], v[148:149], v[144:145]
	v_fma_f64 v[148:149], v[227:228], s[38:39], v[169:170]
	v_add_f64 v[146:147], v[148:149], v[146:147]
	v_fma_f64 v[148:149], v[213:214], s[24:25], -v[173:174]
	;; [unrolled: 4-line block ×5, first 2 shown]
	v_add_f64 v[144:145], v[148:149], v[144:145]
	v_fma_f64 v[148:149], v[253:254], s[36:37], v[243:244]
	v_add_f64 v[146:147], v[148:149], v[146:147]
	s_and_saveexec_b64 s[28:29], s[0:1]
	s_cbranch_execz .LBB0_17
; %bb.16:
	v_mul_f64 v[148:149], v[157:158], s[2:3]
	v_mul_f64 v[191:192], v[213:214], s[24:25]
	v_mov_b32_e32 v33, v21
	v_mov_b32_e32 v27, v23
	;; [unrolled: 1-line block ×4, first 2 shown]
	v_add_f64 v[92:93], v[88:89], v[92:93]
	v_add_f64 v[94:95], v[90:91], v[94:95]
	buffer_store_dword v148, off, s[52:55], 0 offset:128 ; 4-byte Folded Spill
	s_nop 0
	buffer_store_dword v149, off, s[52:55], 0 offset:132 ; 4-byte Folded Spill
	v_mul_f64 v[148:149], v[187:188], s[40:41]
	s_mov_b32 s41, 0x3fea55e2
	s_mov_b32 s40, s16
	buffer_store_dword v148, off, s[52:55], 0 offset:168 ; 4-byte Folded Spill
	s_nop 0
	buffer_store_dword v149, off, s[52:55], 0 offset:172 ; 4-byte Folded Spill
	v_mul_f64 v[148:149], v[157:158], s[8:9]
	v_add_f64 v[92:93], v[92:93], v[96:97]
	v_add_f64 v[94:95], v[94:95], v[98:99]
	buffer_store_dword v148, off, s[52:55], 0 offset:144 ; 4-byte Folded Spill
	s_nop 0
	buffer_store_dword v149, off, s[52:55], 0 offset:148 ; 4-byte Folded Spill
	v_mul_f64 v[148:149], v[187:188], s[16:17]
	v_add_f64 v[92:93], v[92:93], v[100:101]
	v_add_f64 v[94:95], v[94:95], v[102:103]
	;; [unrolled: 6-line block ×10, first 2 shown]
	buffer_store_dword v148, off, s[52:55], 0 offset:208 ; 4-byte Folded Spill
	s_nop 0
	buffer_store_dword v149, off, s[52:55], 0 offset:212 ; 4-byte Folded Spill
	v_mul_f64 v[148:149], v[195:196], s[10:11]
	buffer_store_dword v148, off, s[52:55], 0 offset:80 ; 4-byte Folded Spill
	s_nop 0
	buffer_store_dword v149, off, s[52:55], 0 offset:84 ; 4-byte Folded Spill
	v_mul_f64 v[148:149], v[227:228], s[22:23]
	;; [unrolled: 4-line block ×4, first 2 shown]
	buffer_store_dword v148, off, s[52:55], 0 offset:192 ; 4-byte Folded Spill
	s_nop 0
	buffer_store_dword v149, off, s[52:55], 0 offset:196 ; 4-byte Folded Spill
	buffer_store_dword v191, off, s[52:55], 0 offset:176 ; 4-byte Folded Spill
	s_nop 0
	buffer_store_dword v192, off, s[52:55], 0 offset:180 ; 4-byte Folded Spill
	v_mul_f64 v[191:192], v[245:246], s[34:35]
	v_mul_f64 v[148:149], v[187:188], s[30:31]
	buffer_store_dword v191, off, s[52:55], 0 offset:184 ; 4-byte Folded Spill
	s_nop 0
	buffer_store_dword v192, off, s[52:55], 0 offset:188 ; 4-byte Folded Spill
	buffer_store_dword v150, off, s[52:55], 0 offset:232 ; 4-byte Folded Spill
	s_nop 0
	buffer_store_dword v151, off, s[52:55], 0 offset:236 ; 4-byte Folded Spill
	v_mul_f64 v[191:192], v[213:214], s[18:19]
	v_mul_f64 v[150:151], v[189:190], s[30:31]
	buffer_store_dword v191, off, s[52:55], 0 offset:200 ; 4-byte Folded Spill
	s_nop 0
	buffer_store_dword v192, off, s[52:55], 0 offset:204 ; 4-byte Folded Spill
	v_mul_f64 v[191:192], v[245:246], s[42:43]
	buffer_store_dword v191, off, s[52:55], 0 offset:304 ; 4-byte Folded Spill
	s_nop 0
	buffer_store_dword v192, off, s[52:55], 0 offset:308 ; 4-byte Folded Spill
	buffer_store_dword v152, off, s[52:55], 0 offset:256 ; 4-byte Folded Spill
	s_nop 0
	buffer_store_dword v153, off, s[52:55], 0 offset:260 ; 4-byte Folded Spill
	;; [unrolled: 3-line block ×6, first 2 shown]
	v_mul_f64 v[152:153], v[207:208], s[36:37]
	v_fma_f64 v[159:160], v[171:172], s[20:21], v[148:149]
	v_mul_f64 v[161:162], v[205:206], s[36:37]
	v_fma_f64 v[167:168], v[157:158], s[20:21], -v[150:151]
	v_fma_f64 v[148:149], v[171:172], s[20:21], -v[148:149]
	buffer_store_dword v169, off, s[52:55], 0 offset:312 ; 4-byte Folded Spill
	s_nop 0
	buffer_store_dword v170, off, s[52:55], 0 offset:316 ; 4-byte Folded Spill
	buffer_store_dword v173, off, s[52:55], 0 offset:224 ; 4-byte Folded Spill
	s_nop 0
	buffer_store_dword v174, off, s[52:55], 0 offset:228 ; 4-byte Folded Spill
	;; [unrolled: 3-line block ×3, first 2 shown]
	v_mul_f64 v[169:170], v[211:212], s[34:35]
	v_fma_f64 v[173:174], v[193:194], s[2:3], v[152:153]
	v_add_f64 v[159:160], v[90:91], v[159:160]
	v_mul_f64 v[175:176], v[217:218], s[34:35]
	v_fma_f64 v[247:248], v[165:166], s[2:3], -v[161:162]
	v_add_f64 v[167:168], v[88:89], v[167:168]
	v_fma_f64 v[152:153], v[193:194], s[2:3], -v[152:153]
	v_add_f64 v[148:149], v[90:91], v[148:149]
	buffer_store_dword v163, off, s[52:55], 0 offset:296 ; 4-byte Folded Spill
	s_nop 0
	buffer_store_dword v164, off, s[52:55], 0 offset:300 ; 4-byte Folded Spill
	buffer_store_dword v179, off, s[52:55], 0 offset:288 ; 4-byte Folded Spill
	s_nop 0
	buffer_store_dword v180, off, s[52:55], 0 offset:292 ; 4-byte Folded Spill
	buffer_store_dword v181, off, s[52:55], 0 offset:344 ; 4-byte Folded Spill
	s_nop 0
	buffer_store_dword v182, off, s[52:55], 0 offset:348 ; 4-byte Folded Spill
	v_mul_f64 v[163:164], v[227:228], s[40:41]
	v_fma_f64 v[179:180], v[185:186], s[24:25], v[169:170]
	v_add_f64 v[159:160], v[173:174], v[159:160]
	v_mul_f64 v[173:174], v[239:240], s[40:41]
	v_fma_f64 v[181:182], v[177:178], s[24:25], -v[175:176]
	v_add_f64 v[167:168], v[247:248], v[167:168]
	v_fma_f64 v[169:170], v[185:186], s[24:25], -v[169:170]
	v_add_f64 v[148:149], v[152:153], v[148:149]
	buffer_store_dword v183, off, s[52:55], 0 offset:280 ; 4-byte Folded Spill
	s_nop 0
	buffer_store_dword v184, off, s[52:55], 0 offset:284 ; 4-byte Folded Spill
	v_mul_f64 v[247:248], v[245:246], s[22:23]
	v_fma_f64 v[183:184], v[199:200], s[8:9], v[163:164]
	v_add_f64 v[152:153], v[179:180], v[159:160]
	v_fma_f64 v[179:180], v[195:196], s[8:9], -v[173:174]
	v_add_f64 v[167:168], v[181:182], v[167:168]
	v_fma_f64 v[163:164], v[199:200], s[8:9], -v[163:164]
	v_add_f64 v[148:149], v[169:170], v[148:149]
	v_mul_f64 v[159:160], v[251:252], s[22:23]
	v_mul_f64 v[154:155], v[253:254], s[42:43]
	v_fma_f64 v[181:182], v[219:220], s[10:11], v[247:248]
	v_fma_f64 v[150:151], v[157:158], s[20:21], v[150:151]
	v_add_f64 v[152:153], v[183:184], v[152:153]
	v_add_f64 v[167:168], v[179:180], v[167:168]
	v_fma_f64 v[179:180], v[219:220], s[10:11], -v[247:248]
	v_add_f64 v[148:149], v[163:164], v[148:149]
	v_mul_f64 v[169:170], v[249:250], s[42:43]
	v_fma_f64 v[183:184], v[213:214], s[10:11], -v[159:160]
	v_fma_f64 v[161:162], v[165:166], s[2:3], v[161:162]
	v_add_f64 v[150:151], v[88:89], v[150:151]
	v_fma_f64 v[163:164], v[235:236], s[18:19], v[154:155]
	v_add_f64 v[152:153], v[181:182], v[152:153]
	v_fma_f64 v[154:155], v[235:236], s[18:19], -v[154:155]
	v_add_f64 v[179:180], v[179:180], v[148:149]
	v_mul_f64 v[148:149], v[231:232], s[20:21]
	v_fma_f64 v[181:182], v[231:232], s[18:19], -v[169:170]
	v_add_f64 v[167:168], v[183:184], v[167:168]
	buffer_store_dword v148, off, s[52:55], 0 offset:328 ; 4-byte Folded Spill
	s_nop 0
	buffer_store_dword v149, off, s[52:55], 0 offset:332 ; 4-byte Folded Spill
	v_fma_f64 v[175:176], v[177:178], s[24:25], v[175:176]
	v_add_f64 v[161:162], v[161:162], v[150:151]
	v_add_f64 v[150:151], v[163:164], v[152:153]
	v_mul_f64 v[152:153], v[187:188], s[34:35]
	v_add_f64 v[148:149], v[181:182], v[167:168]
	v_mul_f64 v[167:168], v[189:190], s[34:35]
	v_fma_f64 v[163:164], v[195:196], s[8:9], v[173:174]
	v_add_f64 v[154:155], v[154:155], v[179:180]
	v_mul_f64 v[173:174], v[207:208], s[42:43]
	v_add_f64 v[161:162], v[175:176], v[161:162]
	v_mul_f64 v[179:180], v[205:206], s[42:43]
	v_fma_f64 v[175:176], v[171:172], s[24:25], v[152:153]
	v_mul_f64 v[247:248], v[217:218], s[16:17]
	v_fma_f64 v[181:182], v[157:158], s[24:25], -v[167:168]
	s_mov_b32 s43, 0x3fcea1e5
	s_mov_b32 s42, s30
	v_fma_f64 v[183:184], v[193:194], s[18:19], v[173:174]
	v_add_f64 v[161:162], v[163:164], v[161:162]
	v_mul_f64 v[163:164], v[211:212], s[16:17]
	v_add_f64 v[175:176], v[90:91], v[175:176]
	v_fma_f64 v[191:192], v[165:166], s[18:19], -v[179:180]
	v_add_f64 v[181:182], v[88:89], v[181:182]
	v_mul_f64 v[197:198], v[227:228], s[42:43]
	v_fma_f64 v[152:153], v[171:172], s[24:25], -v[152:153]
	v_fma_f64 v[203:204], v[177:178], s[8:9], -v[247:248]
	;; [unrolled: 1-line block ×3, first 2 shown]
	v_fma_f64 v[201:202], v[185:186], s[8:9], v[163:164]
	v_add_f64 v[175:176], v[183:184], v[175:176]
	v_mul_f64 v[183:184], v[239:240], s[42:43]
	v_add_f64 v[181:182], v[191:192], v[181:182]
	v_mul_f64 v[191:192], v[245:246], s[36:37]
	v_fma_f64 v[209:210], v[199:200], s[20:21], v[197:198]
	v_add_f64 v[152:153], v[90:91], v[152:153]
	v_fma_f64 v[159:160], v[213:214], s[10:11], v[159:160]
	v_fma_f64 v[163:164], v[185:186], s[8:9], -v[163:164]
	v_add_f64 v[175:176], v[201:202], v[175:176]
	v_mul_f64 v[201:202], v[251:252], s[36:37]
	v_fma_f64 v[215:216], v[195:196], s[20:21], -v[183:184]
	v_add_f64 v[181:182], v[203:204], v[181:182]
	v_mul_f64 v[203:204], v[253:254], s[22:23]
	v_fma_f64 v[221:222], v[219:220], s[2:3], v[191:192]
	v_add_f64 v[152:153], v[173:174], v[152:153]
	v_fma_f64 v[167:168], v[157:158], s[24:25], v[167:168]
	v_add_f64 v[173:174], v[209:210], v[175:176]
	v_mul_f64 v[175:176], v[249:250], s[22:23]
	v_fma_f64 v[209:210], v[213:214], s[2:3], -v[201:202]
	v_add_f64 v[181:182], v[215:216], v[181:182]
	v_fma_f64 v[169:170], v[231:232], s[18:19], v[169:170]
	v_add_f64 v[159:160], v[159:160], v[161:162]
	v_fma_f64 v[161:162], v[199:200], s[20:21], -v[197:198]
	v_add_f64 v[152:153], v[163:164], v[152:153]
	v_fma_f64 v[163:164], v[235:236], s[10:11], v[203:204]
	v_add_f64 v[173:174], v[221:222], v[173:174]
	;; [unrolled: 4-line block ×3, first 2 shown]
	v_mul_f64 v[209:210], v[187:188], s[22:23]
	v_mul_f64 v[221:222], v[189:190], s[22:23]
	v_fma_f64 v[191:192], v[219:220], s[2:3], -v[191:192]
	v_add_f64 v[215:216], v[161:162], v[152:153]
	v_add_f64 v[152:153], v[169:170], v[159:160]
	v_add_f64 v[161:162], v[163:164], v[173:174]
	v_add_f64 v[159:160], v[197:198], v[181:182]
	v_mul_f64 v[169:170], v[207:208], s[38:39]
	v_fma_f64 v[173:174], v[171:172], s[10:11], v[209:210]
	v_add_f64 v[167:168], v[179:180], v[167:168]
	v_mul_f64 v[179:180], v[205:206], s[38:39]
	v_fma_f64 v[181:182], v[157:158], s[10:11], -v[221:222]
	v_fma_f64 v[197:198], v[171:172], s[10:11], -v[209:210]
	v_fma_f64 v[163:164], v[177:178], s[8:9], v[247:248]
	v_add_f64 v[191:192], v[191:192], v[215:216]
	v_mul_f64 v[209:210], v[211:212], s[36:37]
	v_fma_f64 v[215:216], v[193:194], s[24:25], v[169:170]
	v_add_f64 v[173:174], v[90:91], v[173:174]
	v_mul_f64 v[247:248], v[217:218], s[36:37]
	v_fma_f64 v[223:224], v[165:166], s[24:25], -v[179:180]
	v_add_f64 v[181:182], v[88:89], v[181:182]
	v_fma_f64 v[169:170], v[193:194], s[24:25], -v[169:170]
	v_add_f64 v[197:198], v[90:91], v[197:198]
	v_fma_f64 v[183:184], v[195:196], s[20:21], v[183:184]
	v_add_f64 v[163:164], v[163:164], v[167:168]
	v_mul_f64 v[167:168], v[227:228], s[26:27]
	v_add_f64 v[173:174], v[215:216], v[173:174]
	v_fma_f64 v[215:216], v[185:186], s[2:3], v[209:210]
	v_add_f64 v[181:182], v[223:224], v[181:182]
	v_fma_f64 v[223:224], v[177:178], s[2:3], -v[247:248]
	v_add_f64 v[169:170], v[169:170], v[197:198]
	v_mul_f64 v[197:198], v[239:240], s[26:27]
	v_fma_f64 v[209:210], v[185:186], s[2:3], -v[209:210]
	v_fma_f64 v[201:202], v[213:214], s[2:3], v[201:202]
	v_add_f64 v[163:164], v[183:184], v[163:164]
	v_mul_f64 v[183:184], v[245:246], s[42:43]
	v_add_f64 v[173:174], v[215:216], v[173:174]
	v_fma_f64 v[215:216], v[199:200], s[18:19], v[167:168]
	v_add_f64 v[181:182], v[223:224], v[181:182]
	v_fma_f64 v[223:224], v[195:196], s[18:19], -v[197:198]
	v_add_f64 v[169:170], v[209:210], v[169:170]
	v_mul_f64 v[209:210], v[251:252], s[42:43]
	v_fma_f64 v[167:168], v[199:200], s[18:19], -v[167:168]
	v_add_f64 v[163:164], v[201:202], v[163:164]
	v_fma_f64 v[201:202], v[219:220], s[20:21], v[183:184]
	v_add_f64 v[173:174], v[215:216], v[173:174]
	v_fma_f64 v[175:176], v[231:232], s[10:11], v[175:176]
	v_add_f64 v[181:182], v[223:224], v[181:182]
	v_mul_f64 v[223:224], v[253:254], s[40:41]
	v_fma_f64 v[20:21], v[213:214], s[20:21], -v[209:210]
	v_add_f64 v[225:226], v[167:168], v[169:170]
	v_fma_f64 v[203:204], v[235:236], s[10:11], -v[203:204]
	v_mul_f64 v[207:208], v[207:208], s[30:31]
	v_add_f64 v[22:23], v[201:202], v[173:174]
	v_mul_f64 v[201:202], v[249:250], s[40:41]
	v_fma_f64 v[173:174], v[219:220], s[20:21], -v[183:184]
	v_add_f64 v[167:168], v[175:176], v[163:164]
	v_fma_f64 v[163:164], v[235:236], s[8:9], v[223:224]
	v_mul_f64 v[183:184], v[187:188], s[26:27]
	v_add_f64 v[20:21], v[20:21], v[181:182]
	v_add_f64 v[169:170], v[203:204], v[191:192]
	s_mov_b32 s23, 0x3fedeba7
	v_fma_f64 v[187:188], v[231:232], s[8:9], -v[201:202]
	v_add_f64 v[203:204], v[173:174], v[225:226]
	v_fma_f64 v[181:182], v[157:158], s[10:11], v[221:222]
	v_add_f64 v[175:176], v[163:164], v[22:23]
	v_fma_f64 v[22:23], v[171:172], s[18:19], v[183:184]
	v_mul_f64 v[163:164], v[189:190], s[26:27]
	v_mul_f64 v[189:190], v[205:206], s[30:31]
	v_fma_f64 v[221:222], v[235:236], s[8:9], -v[223:224]
	v_add_f64 v[173:174], v[187:188], v[20:21]
	v_fma_f64 v[20:21], v[193:194], s[20:21], v[207:208]
	v_mul_f64 v[217:218], v[217:218], s[22:23]
	v_fma_f64 v[171:172], v[171:172], s[18:19], -v[183:184]
	v_add_f64 v[22:23], v[90:91], v[22:23]
	v_fma_f64 v[187:188], v[157:158], s[18:19], -v[163:164]
	v_fma_f64 v[193:194], v[193:194], s[20:21], -v[207:208]
	v_fma_f64 v[157:158], v[157:158], s[18:19], v[163:164]
	v_fma_f64 v[179:180], v[165:166], s[24:25], v[179:180]
	v_mul_f64 v[225:226], v[227:228], s[36:37]
	v_fma_f64 v[98:99], v[165:166], s[20:21], v[189:190]
	v_add_f64 v[171:172], v[90:91], v[171:172]
	v_add_f64 v[20:21], v[20:21], v[22:23]
	v_fma_f64 v[22:23], v[165:166], s[20:21], -v[189:190]
	v_add_f64 v[223:224], v[88:89], v[187:188]
	v_add_f64 v[187:188], v[221:222], v[203:204]
	v_mul_f64 v[221:222], v[239:240], s[36:37]
	v_mul_f64 v[203:204], v[245:246], s[16:17]
	v_add_f64 v[157:158], v[88:89], v[157:158]
	v_add_f64 v[163:164], v[193:194], v[171:172]
	;; [unrolled: 1-line block ×3, first 2 shown]
	v_fma_f64 v[205:206], v[177:178], s[2:3], v[247:248]
	v_add_f64 v[22:23], v[22:23], v[223:224]
	v_fma_f64 v[223:224], v[177:178], s[10:11], -v[217:218]
	v_fma_f64 v[96:97], v[199:200], s[2:3], -v[225:226]
	v_fma_f64 v[227:228], v[219:220], s[8:9], v[203:204]
	v_fma_f64 v[100:101], v[219:220], s[8:9], -v[203:204]
	v_add_f64 v[98:99], v[98:99], v[157:158]
	v_add_f64 v[179:180], v[179:180], v[181:182]
	v_mul_f64 v[181:182], v[211:212], s[22:23]
	v_fma_f64 v[102:103], v[177:178], s[10:11], v[217:218]
	v_add_f64 v[22:23], v[223:224], v[22:23]
	v_fma_f64 v[223:224], v[195:196], s[2:3], -v[221:222]
	v_fma_f64 v[197:198], v[195:196], s[18:19], v[197:198]
	v_mul_f64 v[239:240], v[251:252], s[16:17]
	v_fma_f64 v[110:111], v[195:196], s[2:3], v[221:222]
	v_add_f64 v[179:180], v[205:206], v[179:180]
	v_fma_f64 v[205:206], v[185:186], s[10:11], v[181:182]
	v_fma_f64 v[181:182], v[185:186], s[10:11], -v[181:182]
	v_add_f64 v[98:99], v[102:103], v[98:99]
	v_add_f64 v[22:23], v[223:224], v[22:23]
	buffer_load_dword v223, off, s[52:55], 0 offset:336 ; 4-byte Folded Reload
	buffer_load_dword v224, off, s[52:55], 0 offset:340 ; 4-byte Folded Reload
	v_mul_f64 v[211:212], v[253:254], s[36:37]
	v_fma_f64 v[209:210], v[213:214], s[20:21], v[209:210]
	v_add_f64 v[179:180], v[197:198], v[179:180]
	v_add_f64 v[20:21], v[205:206], v[20:21]
	v_add_f64 v[163:164], v[181:182], v[163:164]
	v_fma_f64 v[205:206], v[199:200], s[2:3], v[225:226]
	v_mul_f64 v[197:198], v[253:254], s[34:35]
	v_mul_f64 v[215:216], v[253:254], s[30:31]
	;; [unrolled: 1-line block ×4, first 2 shown]
	v_fma_f64 v[126:127], v[213:214], s[8:9], v[239:240]
	v_add_f64 v[98:99], v[110:111], v[98:99]
	v_add_f64 v[96:97], v[96:97], v[163:164]
	;; [unrolled: 1-line block ×3, first 2 shown]
	v_fma_f64 v[205:206], v[235:236], s[24:25], v[197:198]
	v_add_f64 v[179:180], v[209:210], v[179:180]
	v_fma_f64 v[209:210], v[213:214], s[8:9], -v[239:240]
	v_add_f64 v[110:111], v[243:244], -v[211:212]
	v_fma_f64 v[108:109], v[235:236], s[24:25], -v[197:198]
	v_add_f64 v[118:119], v[237:238], -v[215:216]
	v_add_f64 v[96:97], v[100:101], v[96:97]
	v_add_f64 v[20:21], v[227:228], v[20:21]
	;; [unrolled: 1-line block ×3, first 2 shown]
	v_fma_f64 v[124:125], v[231:232], s[24:25], v[183:184]
	v_fma_f64 v[201:202], v[231:232], s[8:9], v[201:202]
	v_fma_f64 v[207:208], v[231:232], s[24:25], -v[183:184]
	v_add_f64 v[22:23], v[209:210], v[22:23]
	s_waitcnt vmcnt(0)
	v_add_f64 v[223:224], v[34:35], -v[223:224]
	buffer_load_dword v34, off, s[52:55], 0 offset:216 ; 4-byte Folded Reload
	buffer_load_dword v35, off, s[52:55], 0 offset:220 ; 4-byte Folded Reload
	v_add_f64 v[185:186], v[90:91], v[223:224]
	s_waitcnt vmcnt(0)
	v_add_f64 v[171:172], v[54:55], -v[34:35]
	buffer_load_dword v34, off, s[52:55], 0 offset:208 ; 4-byte Folded Reload
	buffer_load_dword v35, off, s[52:55], 0 offset:212 ; 4-byte Folded Reload
	;; [unrolled: 1-line block ×5, first 2 shown]
	v_add_f64 v[171:172], v[171:172], v[185:186]
	v_add_f64 v[185:186], v[201:202], v[179:180]
	s_waitcnt vmcnt(1)
	v_add_f64 v[165:166], v[54:55], -v[34:35]
	buffer_load_dword v34, off, s[52:55], 0 offset:192 ; 4-byte Folded Reload
	buffer_load_dword v35, off, s[52:55], 0 offset:196 ; 4-byte Folded Reload
	;; [unrolled: 1-line block ×4, first 2 shown]
	v_add_f64 v[163:164], v[165:166], v[171:172]
	s_waitcnt vmcnt(0)
	v_add_f64 v[157:158], v[54:55], -v[34:35]
	buffer_load_dword v34, off, s[52:55], 0 offset:304 ; 4-byte Folded Reload
	buffer_load_dword v35, off, s[52:55], 0 offset:308 ; 4-byte Folded Reload
	;; [unrolled: 1-line block ×4, first 2 shown]
	v_add_f64 v[102:103], v[157:158], v[163:164]
	s_waitcnt vmcnt(0)
	v_add_f64 v[100:101], v[54:55], -v[34:35]
	buffer_load_dword v34, off, s[52:55], 0 offset:168 ; 4-byte Folded Reload
	buffer_load_dword v35, off, s[52:55], 0 offset:172 ; 4-byte Folded Reload
	v_add_f64 v[100:101], v[100:101], v[102:103]
	v_add_f64 v[94:95], v[110:111], v[100:101]
	;; [unrolled: 1-line block ×4, first 2 shown]
	s_waitcnt vmcnt(0)
	v_add_f64 v[157:158], v[24:25], -v[34:35]
	buffer_load_dword v24, off, s[52:55], 0 offset:128 ; 4-byte Folded Reload
	buffer_load_dword v25, off, s[52:55], 0 offset:132 ; 4-byte Folded Reload
	v_add_f64 v[90:91], v[90:91], v[157:158]
	s_waitcnt vmcnt(0)
	v_add_f64 v[102:103], v[24:25], v[32:33]
	buffer_load_dword v24, off, s[52:55], 0 offset:144 ; 4-byte Folded Reload
	buffer_load_dword v25, off, s[52:55], 0 offset:148 ; 4-byte Folded Reload
	v_add_f64 v[102:103], v[88:89], v[102:103]
	s_waitcnt vmcnt(0)
	v_add_f64 v[128:129], v[24:25], v[26:27]
	;; [unrolled: 5-line block ×3, first 2 shown]
	buffer_load_dword v24, off, s[52:55], 0 offset:152 ; 4-byte Folded Reload
	buffer_load_dword v25, off, s[52:55], 0 offset:156 ; 4-byte Folded Reload
	v_add_f64 v[88:89], v[130:131], v[88:89]
	s_waitcnt vmcnt(0)
	v_add_f64 v[163:164], v[233:234], -v[24:25]
	buffer_load_dword v24, off, s[52:55], 0 offset:120 ; 4-byte Folded Reload
	buffer_load_dword v25, off, s[52:55], 0 offset:124 ; 4-byte Folded Reload
	v_add_f64 v[90:91], v[163:164], v[90:91]
	s_waitcnt vmcnt(0)
	v_add_f64 v[157:158], v[24:25], v[229:230]
	buffer_load_dword v24, off, s[52:55], 0 offset:136 ; 4-byte Folded Reload
	buffer_load_dword v25, off, s[52:55], 0 offset:140 ; 4-byte Folded Reload
	;; [unrolled: 1-line block ×4, first 2 shown]
	v_add_f64 v[102:103], v[157:158], v[102:103]
	s_waitcnt vmcnt(0)
	v_add_f64 v[128:129], v[24:25], v[26:27]
	buffer_load_dword v24, off, s[52:55], 0 offset:112 ; 4-byte Folded Reload
	buffer_load_dword v25, off, s[52:55], 0 offset:116 ; 4-byte Folded Reload
	;; [unrolled: 1-line block ×4, first 2 shown]
	v_add_f64 v[88:89], v[128:129], v[88:89]
	s_waitcnt vmcnt(0)
	v_add_f64 v[136:137], v[26:27], -v[24:25]
	buffer_load_dword v24, off, s[52:55], 0 offset:96 ; 4-byte Folded Reload
	buffer_load_dword v25, off, s[52:55], 0 offset:100 ; 4-byte Folded Reload
	;; [unrolled: 1-line block ×4, first 2 shown]
	v_add_f64 v[90:91], v[136:137], v[90:91]
	s_waitcnt vmcnt(0)
	v_add_f64 v[138:139], v[24:25], v[26:27]
	buffer_load_dword v24, off, s[52:55], 0 offset:104 ; 4-byte Folded Reload
	buffer_load_dword v25, off, s[52:55], 0 offset:108 ; 4-byte Folded Reload
	;; [unrolled: 1-line block ×4, first 2 shown]
	v_add_f64 v[102:103], v[138:139], v[102:103]
	s_waitcnt vmcnt(0)
	v_add_f64 v[130:131], v[24:25], v[26:27]
	buffer_load_dword v24, off, s[52:55], 0 offset:88 ; 4-byte Folded Reload
	buffer_load_dword v25, off, s[52:55], 0 offset:92 ; 4-byte Folded Reload
	;; [unrolled: 1-line block ×4, first 2 shown]
	v_add_f64 v[88:89], v[130:131], v[88:89]
	s_waitcnt vmcnt(0)
	v_add_f64 v[132:133], v[26:27], -v[24:25]
	buffer_load_dword v24, off, s[52:55], 0 offset:80 ; 4-byte Folded Reload
	buffer_load_dword v25, off, s[52:55], 0 offset:84 ; 4-byte Folded Reload
	;; [unrolled: 1-line block ×4, first 2 shown]
	v_add_f64 v[90:91], v[132:133], v[90:91]
	s_waitcnt vmcnt(0)
	v_add_f64 v[134:135], v[24:25], v[26:27]
	buffer_load_dword v24, off, s[52:55], 0 offset:200 ; 4-byte Folded Reload
	buffer_load_dword v25, off, s[52:55], 0 offset:204 ; 4-byte Folded Reload
	;; [unrolled: 1-line block ×4, first 2 shown]
	v_add_f64 v[102:103], v[134:135], v[102:103]
	s_waitcnt vmcnt(0)
	v_add_f64 v[120:121], v[24:25], v[26:27]
	buffer_load_dword v24, off, s[52:55], 0 offset:184 ; 4-byte Folded Reload
	buffer_load_dword v25, off, s[52:55], 0 offset:188 ; 4-byte Folded Reload
	;; [unrolled: 1-line block ×4, first 2 shown]
	v_add_f64 v[88:89], v[120:121], v[88:89]
	v_add_f64 v[120:121], v[126:127], v[98:99]
	;; [unrolled: 1-line block ×4, first 2 shown]
	s_waitcnt vmcnt(0)
	v_add_f64 v[122:123], v[26:27], -v[24:25]
	buffer_load_dword v24, off, s[52:55], 0 offset:176 ; 4-byte Folded Reload
	buffer_load_dword v25, off, s[52:55], 0 offset:180 ; 4-byte Folded Reload
	;; [unrolled: 1-line block ×4, first 2 shown]
	v_add_f64 v[122:123], v[122:123], v[90:91]
	v_add_f64 v[90:91], v[108:109], v[96:97]
	;; [unrolled: 1-line block ×3, first 2 shown]
	s_waitcnt vmcnt(0)
	v_add_f64 v[128:129], v[24:25], v[26:27]
	buffer_load_dword v24, off, s[52:55], 0 offset:280 ; 4-byte Folded Reload
	buffer_load_dword v25, off, s[52:55], 0 offset:284 ; 4-byte Folded Reload
	;; [unrolled: 1-line block ×4, first 2 shown]
	v_add_f64 v[112:113], v[128:129], v[102:103]
	v_add_f64 v[102:103], v[114:115], v[106:107]
	;; [unrolled: 1-line block ×3, first 2 shown]
	buffer_load_dword v20, off, s[52:55], 0 offset:12 ; 4-byte Folded Reload
	s_waitcnt vmcnt(1)
	v_add_f64 v[130:131], v[26:27], v[24:25]
	v_add_f64 v[96:97], v[130:131], v[112:113]
	s_waitcnt vmcnt(0)
	v_lshlrev_b32_e32 v20, 4, v20
	ds_write_b128 v20, v[100:103]
	ds_write_b128 v20, v[96:99] offset:16
	ds_write_b128 v20, v[92:95] offset:32
	;; [unrolled: 1-line block ×12, first 2 shown]
.LBB0_17:
	s_or_b64 exec, exec, s[28:29]
	s_waitcnt lgkmcnt(0)
	s_barrier
	ds_read_b128 v[88:91], v255 offset:2704
	ds_read_b128 v[96:99], v255 offset:8112
	;; [unrolled: 1-line block ×3, first 2 shown]
	s_mov_b32 s16, 0xf8bb580b
	s_mov_b32 s2, 0x8eee2c13
	s_waitcnt lgkmcnt(2)
	v_mul_f64 v[20:21], v[50:51], v[90:91]
	v_mul_f64 v[22:23], v[50:51], v[88:89]
	s_waitcnt lgkmcnt(1)
	v_mul_f64 v[102:103], v[14:15], v[98:99]
	v_mul_f64 v[14:15], v[14:15], v[96:97]
	s_mov_b32 s20, 0x43842ef
	s_mov_b32 s28, 0xbb3a28a1
	;; [unrolled: 1-line block ×4, first 2 shown]
	v_fma_f64 v[20:21], v[48:49], v[88:89], v[20:21]
	v_fma_f64 v[22:23], v[48:49], v[90:91], -v[22:23]
	ds_read_b128 v[48:51], v255
	s_waitcnt lgkmcnt(1)
	v_mul_f64 v[100:101], v[42:43], v[94:95]
	v_mul_f64 v[42:43], v[42:43], v[92:93]
	ds_read_b128 v[88:91], v255 offset:13520
	v_fma_f64 v[102:103], v[12:13], v[96:97], v[102:103]
	v_fma_f64 v[108:109], v[12:13], v[98:99], -v[14:15]
	s_mov_b32 s3, 0xbfed1bb4
	s_mov_b32 s21, 0xbfefac9e
	s_waitcnt lgkmcnt(0)
	v_mul_f64 v[110:111], v[46:47], v[90:91]
	v_fma_f64 v[100:101], v[40:41], v[92:93], v[100:101]
	v_fma_f64 v[104:105], v[40:41], v[94:95], -v[42:43]
	v_add_f64 v[92:93], v[48:49], v[20:21]
	v_add_f64 v[94:95], v[50:51], v[22:23]
	ds_read_b128 v[40:43], v255 offset:10816
	v_mul_f64 v[46:47], v[46:47], v[88:89]
	s_mov_b32 s29, 0xbfe82f19
	v_fma_f64 v[88:89], v[44:45], v[88:89], v[110:111]
	s_mov_b32 s37, 0xbfd207e7
	s_waitcnt lgkmcnt(0)
	v_mul_f64 v[106:107], v[6:7], v[42:43]
	v_mul_f64 v[6:7], v[6:7], v[40:41]
	v_add_f64 v[96:97], v[92:93], v[100:101]
	v_add_f64 v[98:99], v[94:95], v[104:105]
	ds_read_b128 v[12:15], v255 offset:16224
	ds_read_b128 v[92:95], v255 offset:18928
	v_fma_f64 v[44:45], v[44:45], v[90:91], -v[46:47]
	s_mov_b32 s8, 0x8764f0ba
	s_mov_b32 s10, 0xd9c712b6
	v_fma_f64 v[106:107], v[4:5], v[40:41], v[106:107]
	v_fma_f64 v[112:113], v[4:5], v[42:43], -v[6:7]
	v_add_f64 v[114:115], v[96:97], v[102:103]
	v_add_f64 v[116:117], v[98:99], v[108:109]
	s_waitcnt lgkmcnt(1)
	v_mul_f64 v[118:119], v[18:19], v[14:15]
	v_mul_f64 v[18:19], v[18:19], v[12:13]
	ds_read_b128 v[4:7], v255 offset:21632
	ds_read_b128 v[40:43], v255 offset:24336
	;; [unrolled: 1-line block ×3, first 2 shown]
	s_waitcnt lgkmcnt(3)
	v_mul_f64 v[110:111], v[10:11], v[94:95]
	v_mul_f64 v[10:11], v[10:11], v[92:93]
	s_mov_b32 s24, 0x640f44db
	v_add_f64 v[46:47], v[114:115], v[106:107]
	v_add_f64 v[90:91], v[116:117], v[112:113]
	v_fma_f64 v[12:13], v[16:17], v[12:13], v[118:119]
	v_fma_f64 v[14:15], v[16:17], v[14:15], -v[18:19]
	s_mov_b32 s30, 0x7f775887
	v_fma_f64 v[92:93], v[8:9], v[92:93], v[110:111]
	v_fma_f64 v[8:9], v[8:9], v[94:95], -v[10:11]
	s_mov_b32 s38, 0x9bcd5057
	v_add_f64 v[16:17], v[46:47], v[88:89]
	v_add_f64 v[18:19], v[90:91], v[44:45]
	s_waitcnt lgkmcnt(0)
	v_mul_f64 v[46:47], v[38:39], v[96:97]
	v_mul_f64 v[90:91], v[2:3], v[6:7]
	;; [unrolled: 1-line block ×3, first 2 shown]
	s_mov_b32 s9, 0x3feaeb8c
	s_mov_b32 s11, 0x3fda9628
	;; [unrolled: 1-line block ×3, first 2 shown]
	v_add_f64 v[10:11], v[16:17], v[12:13]
	v_add_f64 v[16:17], v[18:19], v[14:15]
	v_mul_f64 v[18:19], v[38:39], v[98:99]
	v_fma_f64 v[38:39], v[36:37], v[98:99], -v[46:47]
	v_mul_f64 v[46:47], v[30:31], v[42:43]
	v_mul_f64 v[30:31], v[30:31], v[40:41]
	v_fma_f64 v[4:5], v[0:1], v[4:5], v[90:91]
	v_fma_f64 v[6:7], v[0:1], v[6:7], -v[2:3]
	v_add_f64 v[0:1], v[10:11], v[92:93]
	v_add_f64 v[2:3], v[16:17], v[8:9]
	v_fma_f64 v[10:11], v[36:37], v[96:97], v[18:19]
	v_add_f64 v[16:17], v[22:23], -v[38:39]
	v_fma_f64 v[18:19], v[28:29], v[40:41], v[46:47]
	v_fma_f64 v[28:29], v[28:29], v[42:43], -v[30:31]
	v_add_f64 v[22:23], v[22:23], v[38:39]
	s_mov_b32 s31, 0xbfe4f49e
	v_add_f64 v[0:1], v[0:1], v[4:5]
	v_add_f64 v[2:3], v[2:3], v[6:7]
	;; [unrolled: 1-line block ×3, first 2 shown]
	v_mul_f64 v[36:37], v[16:17], s[16:17]
	v_mul_f64 v[46:47], v[16:17], s[2:3]
	;; [unrolled: 1-line block ×5, first 2 shown]
	v_add_f64 v[124:125], v[104:105], -v[28:29]
	s_mov_b32 s39, 0xbfeeb42a
	v_add_f64 v[20:21], v[20:21], -v[10:11]
	v_mul_f64 v[40:41], v[22:23], s[8:9]
	v_add_f64 v[0:1], v[0:1], v[18:19]
	v_add_f64 v[2:3], v[2:3], v[28:29]
	v_fma_f64 v[42:43], v[30:31], s[8:9], v[36:37]
	v_mul_f64 v[90:91], v[22:23], s[10:11]
	v_mul_f64 v[110:111], v[22:23], s[24:25]
	;; [unrolled: 1-line block ×4, first 2 shown]
	v_add_f64 v[28:29], v[104:105], v[28:29]
	v_fma_f64 v[104:105], v[30:31], s[38:39], v[16:17]
	v_add_f64 v[128:129], v[100:101], v[18:19]
	v_add_f64 v[18:19], v[100:101], -v[18:19]
	v_mul_f64 v[100:101], v[124:125], s[2:3]
	s_mov_b32 s23, 0x3fe14ced
	s_mov_b32 s22, s16
	;; [unrolled: 1-line block ×10, first 2 shown]
	v_fma_f64 v[94:95], v[20:21], s[22:23], v[40:41]
	v_add_f64 v[0:1], v[0:1], v[10:11]
	v_add_f64 v[2:3], v[2:3], v[38:39]
	v_fma_f64 v[10:11], v[30:31], s[8:9], -v[36:37]
	v_add_f64 v[36:37], v[48:49], v[42:43]
	v_fma_f64 v[38:39], v[20:21], s[16:17], v[40:41]
	v_fma_f64 v[40:41], v[30:31], s[10:11], v[46:47]
	v_fma_f64 v[42:43], v[20:21], s[18:19], v[90:91]
	v_fma_f64 v[46:47], v[30:31], s[10:11], -v[46:47]
	v_fma_f64 v[90:91], v[20:21], s[2:3], v[90:91]
	v_fma_f64 v[98:99], v[30:31], s[24:25], v[96:97]
	v_fma_f64 v[118:119], v[20:21], s[26:27], v[110:111]
	v_fma_f64 v[96:97], v[30:31], s[24:25], -v[96:97]
	;; [unrolled: 4-line block ×3, first 2 shown]
	v_fma_f64 v[116:117], v[20:21], s[28:29], v[116:117]
	v_fma_f64 v[126:127], v[20:21], s[40:41], v[22:23]
	v_mul_f64 v[130:131], v[28:29], s[10:11]
	v_fma_f64 v[16:17], v[30:31], s[38:39], -v[16:17]
	v_fma_f64 v[20:21], v[20:21], s[36:37], v[22:23]
	v_add_f64 v[22:23], v[48:49], v[104:105]
	v_mul_f64 v[104:105], v[124:125], s[28:29]
	v_fma_f64 v[132:133], v[128:129], s[10:11], v[100:101]
	v_add_f64 v[94:95], v[50:51], v[94:95]
	v_add_f64 v[10:11], v[48:49], v[10:11]
	;; [unrolled: 1-line block ×16, first 2 shown]
	v_mul_f64 v[126:127], v[28:29], s[30:31]
	v_fma_f64 v[134:135], v[18:19], s[18:19], v[130:131]
	v_add_f64 v[16:17], v[48:49], v[16:17]
	v_add_f64 v[20:21], v[50:51], v[20:21]
	v_fma_f64 v[48:49], v[128:129], s[10:11], -v[100:101]
	v_fma_f64 v[50:51], v[18:19], s[2:3], v[130:131]
	v_fma_f64 v[100:101], v[128:129], s[30:31], v[104:105]
	v_add_f64 v[36:37], v[132:133], v[36:37]
	v_mul_f64 v[132:133], v[124:125], s[40:41]
	v_fma_f64 v[130:131], v[18:19], s[34:35], v[126:127]
	v_add_f64 v[94:95], v[134:135], v[94:95]
	v_mul_f64 v[134:135], v[28:29], s[38:39]
	v_add_f64 v[10:11], v[48:49], v[10:11]
	v_add_f64 v[38:39], v[50:51], v[38:39]
	;; [unrolled: 1-line block ×3, first 2 shown]
	v_fma_f64 v[48:49], v[128:129], s[30:31], -v[104:105]
	v_fma_f64 v[50:51], v[18:19], s[28:29], v[126:127]
	v_fma_f64 v[100:101], v[128:129], s[38:39], v[132:133]
	v_mul_f64 v[126:127], v[124:125], s[26:27]
	v_add_f64 v[42:43], v[130:131], v[42:43]
	v_fma_f64 v[104:105], v[18:19], s[36:37], v[134:135]
	v_mul_f64 v[130:131], v[28:29], s[24:25]
	v_fma_f64 v[134:135], v[18:19], s[40:41], v[134:135]
	v_add_f64 v[46:47], v[48:49], v[46:47]
	v_add_f64 v[48:49], v[50:51], v[90:91]
	;; [unrolled: 1-line block ×3, first 2 shown]
	v_fma_f64 v[98:99], v[128:129], s[24:25], v[126:127]
	v_mul_f64 v[28:29], v[28:29], s[8:9]
	v_add_f64 v[90:91], v[104:105], v[118:119]
	v_fma_f64 v[118:119], v[18:19], s[26:27], v[130:131]
	v_add_f64 v[104:105], v[134:135], v[110:111]
	v_fma_f64 v[110:111], v[128:129], s[24:25], -v[126:127]
	v_fma_f64 v[100:101], v[18:19], s[20:21], v[130:131]
	v_mul_f64 v[124:125], v[124:125], s[22:23]
	v_add_f64 v[98:99], v[98:99], v[120:121]
	v_add_f64 v[120:121], v[108:109], -v[6:7]
	v_add_f64 v[6:7], v[108:109], v[6:7]
	v_fma_f64 v[132:133], v[128:129], s[38:39], -v[132:133]
	v_add_f64 v[108:109], v[110:111], v[114:115]
	v_add_f64 v[110:111], v[118:119], v[116:117]
	v_fma_f64 v[116:117], v[18:19], s[16:17], v[28:29]
	v_add_f64 v[118:119], v[102:103], v[4:5]
	v_add_f64 v[4:5], v[102:103], -v[4:5]
	v_mul_f64 v[102:103], v[120:121], s[20:21]
	v_add_f64 v[100:101], v[100:101], v[122:123]
	v_fma_f64 v[114:115], v[128:129], s[8:9], v[124:125]
	v_mul_f64 v[122:123], v[6:7], s[24:25]
	v_fma_f64 v[18:19], v[18:19], s[22:23], v[28:29]
	v_add_f64 v[28:29], v[116:117], v[30:31]
	v_mul_f64 v[30:31], v[120:121], s[40:41]
	v_fma_f64 v[124:125], v[128:129], s[8:9], -v[124:125]
	v_fma_f64 v[116:117], v[118:119], s[24:25], v[102:103]
	v_add_f64 v[96:97], v[132:133], v[96:97]
	v_add_f64 v[22:23], v[114:115], v[22:23]
	v_mul_f64 v[114:115], v[6:7], s[38:39]
	v_fma_f64 v[126:127], v[4:5], s[26:27], v[122:123]
	v_add_f64 v[18:19], v[18:19], v[20:21]
	v_fma_f64 v[20:21], v[118:119], s[24:25], -v[102:103]
	v_fma_f64 v[102:103], v[4:5], s[20:21], v[122:123]
	v_fma_f64 v[122:123], v[118:119], s[38:39], v[30:31]
	v_add_f64 v[36:37], v[116:117], v[36:37]
	v_mul_f64 v[116:117], v[120:121], s[18:19]
	v_add_f64 v[16:17], v[124:125], v[16:17]
	v_fma_f64 v[124:125], v[4:5], s[36:37], v[114:115]
	v_add_f64 v[94:95], v[126:127], v[94:95]
	v_mul_f64 v[126:127], v[6:7], s[10:11]
	v_add_f64 v[10:11], v[20:21], v[10:11]
	v_add_f64 v[20:21], v[102:103], v[38:39]
	;; [unrolled: 1-line block ×3, first 2 shown]
	v_fma_f64 v[30:31], v[118:119], s[38:39], -v[30:31]
	v_fma_f64 v[102:103], v[118:119], s[10:11], v[116:117]
	v_mul_f64 v[122:123], v[120:121], s[16:17]
	v_add_f64 v[40:41], v[124:125], v[42:43]
	v_fma_f64 v[42:43], v[4:5], s[40:41], v[114:115]
	v_fma_f64 v[114:115], v[4:5], s[2:3], v[126:127]
	v_mul_f64 v[124:125], v[6:7], s[8:9]
	v_fma_f64 v[126:127], v[4:5], s[18:19], v[126:127]
	v_add_f64 v[30:31], v[30:31], v[46:47]
	v_add_f64 v[46:47], v[102:103], v[50:51]
	v_fma_f64 v[50:51], v[118:119], s[8:9], v[122:123]
	v_fma_f64 v[116:117], v[118:119], s[10:11], -v[116:117]
	v_add_f64 v[42:43], v[42:43], v[48:49]
	v_add_f64 v[48:49], v[114:115], v[90:91]
	v_fma_f64 v[90:91], v[4:5], s[22:23], v[124:125]
	v_add_f64 v[102:103], v[126:127], v[104:105]
	v_mul_f64 v[104:105], v[120:121], s[28:29]
	v_mul_f64 v[6:7], v[6:7], s[30:31]
	v_fma_f64 v[114:115], v[118:119], s[8:9], -v[122:123]
	v_add_f64 v[50:51], v[50:51], v[98:99]
	v_add_f64 v[98:99], v[112:113], -v[8:9]
	v_add_f64 v[96:97], v[116:117], v[96:97]
	v_fma_f64 v[116:117], v[4:5], s[16:17], v[124:125]
	v_add_f64 v[90:91], v[90:91], v[100:101]
	v_add_f64 v[8:9], v[112:113], v[8:9]
	v_fma_f64 v[100:101], v[118:119], s[30:31], v[104:105]
	v_fma_f64 v[112:113], v[4:5], s[34:35], v[6:7]
	v_add_f64 v[108:109], v[114:115], v[108:109]
	v_add_f64 v[114:115], v[106:107], v[92:93]
	v_add_f64 v[92:93], v[106:107], -v[92:93]
	v_mul_f64 v[106:107], v[98:99], s[28:29]
	v_add_f64 v[110:111], v[116:117], v[110:111]
	v_mul_f64 v[116:117], v[8:9], s[30:31]
	v_add_f64 v[22:23], v[100:101], v[22:23]
	v_add_f64 v[28:29], v[112:113], v[28:29]
	v_fma_f64 v[100:101], v[118:119], s[30:31], -v[104:105]
	v_fma_f64 v[4:5], v[4:5], s[28:29], v[6:7]
	v_mul_f64 v[6:7], v[98:99], s[26:27]
	v_mul_f64 v[104:105], v[8:9], s[24:25]
	v_fma_f64 v[112:113], v[114:115], s[30:31], v[106:107]
	v_fma_f64 v[118:119], v[92:93], s[34:35], v[116:117]
	v_fma_f64 v[106:107], v[114:115], s[30:31], -v[106:107]
	v_fma_f64 v[116:117], v[92:93], s[28:29], v[116:117]
	v_add_f64 v[16:17], v[100:101], v[16:17]
	v_add_f64 v[4:5], v[4:5], v[18:19]
	v_fma_f64 v[18:19], v[114:115], s[24:25], v[6:7]
	v_fma_f64 v[100:101], v[92:93], s[20:21], v[104:105]
	v_add_f64 v[36:37], v[112:113], v[36:37]
	v_mul_f64 v[112:113], v[8:9], s[8:9]
	v_fma_f64 v[104:105], v[92:93], s[26:27], v[104:105]
	v_add_f64 v[94:95], v[118:119], v[94:95]
	v_add_f64 v[10:11], v[106:107], v[10:11]
	v_mul_f64 v[106:107], v[98:99], s[16:17]
	v_add_f64 v[38:39], v[18:19], v[38:39]
	v_add_f64 v[40:41], v[100:101], v[40:41]
	v_mul_f64 v[18:19], v[98:99], s[36:37]
	v_mul_f64 v[100:101], v[8:9], s[38:39]
	v_fma_f64 v[6:7], v[114:115], s[24:25], -v[6:7]
	v_fma_f64 v[118:119], v[92:93], s[22:23], v[112:113]
	v_fma_f64 v[112:113], v[92:93], s[16:17], v[112:113]
	v_add_f64 v[42:43], v[104:105], v[42:43]
	v_add_f64 v[104:105], v[44:45], -v[14:15]
	v_mul_f64 v[8:9], v[8:9], s[10:11]
	v_add_f64 v[20:21], v[116:117], v[20:21]
	v_fma_f64 v[116:117], v[114:115], s[8:9], v[106:107]
	v_fma_f64 v[106:107], v[114:115], s[8:9], -v[106:107]
	v_add_f64 v[30:31], v[6:7], v[30:31]
	v_add_f64 v[102:103], v[112:113], v[102:103]
	;; [unrolled: 1-line block ×3, first 2 shown]
	v_mul_f64 v[6:7], v[98:99], s[18:19]
	v_fma_f64 v[14:15], v[114:115], s[38:39], -v[18:19]
	v_add_f64 v[98:99], v[88:89], v[12:13]
	v_add_f64 v[88:89], v[88:89], -v[12:13]
	v_mul_f64 v[12:13], v[104:105], s[36:37]
	v_fma_f64 v[112:113], v[92:93], s[2:3], v[8:9]
	v_fma_f64 v[120:121], v[114:115], s[38:39], v[18:19]
	;; [unrolled: 1-line block ×3, first 2 shown]
	v_add_f64 v[96:97], v[106:107], v[96:97]
	v_fma_f64 v[18:19], v[92:93], s[36:37], v[100:101]
	v_mul_f64 v[100:101], v[44:45], s[38:39]
	v_fma_f64 v[106:107], v[114:115], s[10:11], v[6:7]
	v_add_f64 v[108:109], v[14:15], v[108:109]
	v_fma_f64 v[8:9], v[92:93], s[18:19], v[8:9]
	v_fma_f64 v[14:15], v[98:99], s[38:39], v[12:13]
	v_add_f64 v[92:93], v[112:113], v[28:29]
	v_mul_f64 v[28:29], v[104:105], s[22:23]
	v_add_f64 v[110:111], v[18:19], v[110:111]
	v_fma_f64 v[6:7], v[114:115], s[10:11], -v[6:7]
	v_fma_f64 v[18:19], v[88:89], s[40:41], v[100:101]
	v_add_f64 v[22:23], v[106:107], v[22:23]
	v_mul_f64 v[106:107], v[44:45], s[8:9]
	v_add_f64 v[114:115], v[8:9], v[4:5]
	v_add_f64 v[4:5], v[14:15], v[36:37]
	v_fma_f64 v[8:9], v[98:99], s[38:39], -v[12:13]
	v_fma_f64 v[12:13], v[88:89], s[36:37], v[100:101]
	v_fma_f64 v[14:15], v[98:99], s[8:9], v[28:29]
	v_mul_f64 v[100:101], v[44:45], s[30:31]
	v_add_f64 v[48:49], v[118:119], v[48:49]
	v_add_f64 v[112:113], v[6:7], v[16:17]
	;; [unrolled: 1-line block ×3, first 2 shown]
	v_fma_f64 v[36:37], v[88:89], s[16:17], v[106:107]
	v_mul_f64 v[94:95], v[104:105], s[28:29]
	v_fma_f64 v[28:29], v[98:99], s[8:9], -v[28:29]
	v_fma_f64 v[106:107], v[88:89], s[22:23], v[106:107]
	v_add_f64 v[16:17], v[8:9], v[10:11]
	v_add_f64 v[8:9], v[14:15], v[38:39]
	v_fma_f64 v[14:15], v[88:89], s[34:35], v[100:101]
	v_add_f64 v[46:47], v[116:117], v[46:47]
	v_add_f64 v[18:19], v[12:13], v[20:21]
	;; [unrolled: 1-line block ×3, first 2 shown]
	v_fma_f64 v[12:13], v[98:99], s[30:31], v[94:95]
	v_add_f64 v[28:29], v[28:29], v[30:31]
	v_add_f64 v[30:31], v[106:107], v[42:43]
	v_fma_f64 v[20:21], v[98:99], s[30:31], -v[94:95]
	v_fma_f64 v[36:37], v[88:89], s[28:29], v[100:101]
	v_mul_f64 v[38:39], v[104:105], s[18:19]
	v_mul_f64 v[40:41], v[44:45], s[10:11]
	v_add_f64 v[14:15], v[14:15], v[48:49]
	v_mul_f64 v[42:43], v[104:105], s[20:21]
	v_mul_f64 v[48:49], v[44:45], s[24:25]
	v_add_f64 v[50:51], v[120:121], v[50:51]
	v_add_f64 v[90:91], v[122:123], v[90:91]
	;; [unrolled: 1-line block ×5, first 2 shown]
	v_fma_f64 v[20:21], v[98:99], s[10:11], v[38:39]
	v_fma_f64 v[94:95], v[88:89], s[2:3], v[40:41]
	v_fma_f64 v[96:97], v[98:99], s[10:11], -v[38:39]
	v_fma_f64 v[40:41], v[88:89], s[18:19], v[40:41]
	v_fma_f64 v[100:101], v[98:99], s[24:25], v[42:43]
	;; [unrolled: 1-line block ×3, first 2 shown]
	v_fma_f64 v[98:99], v[98:99], s[24:25], -v[42:43]
	v_fma_f64 v[104:105], v[88:89], s[20:21], v[48:49]
	v_add_f64 v[36:37], v[20:21], v[50:51]
	v_add_f64 v[38:39], v[94:95], v[90:91]
	;; [unrolled: 1-line block ×8, first 2 shown]
	s_barrier
	ds_write_b128 v156, v[0:3]
	ds_write_b128 v156, v[4:7] offset:208
	ds_write_b128 v156, v[8:11] offset:416
	;; [unrolled: 1-line block ×10, first 2 shown]
	s_waitcnt lgkmcnt(0)
	s_barrier
	s_and_saveexec_b64 s[2:3], s[0:1]
	s_cbranch_execz .LBB0_19
; %bb.18:
	ds_read_b128 v[0:3], v255
	ds_read_b128 v[4:7], v255 offset:2288
	ds_read_b128 v[8:11], v255 offset:4576
	;; [unrolled: 1-line block ×12, first 2 shown]
.LBB0_19:
	s_or_b64 exec, exec, s[2:3]
	s_and_saveexec_b64 s[2:3], s[0:1]
	s_cbranch_execz .LBB0_21
; %bb.20:
	buffer_load_dword v52, off, s[52:55], 0 offset:64 ; 4-byte Folded Reload
	buffer_load_dword v53, off, s[52:55], 0 offset:68 ; 4-byte Folded Reload
	;; [unrolled: 1-line block ×4, first 2 shown]
	s_waitcnt lgkmcnt(6)
	v_mul_f64 v[20:21], v[86:87], v[50:51]
	s_waitcnt lgkmcnt(5)
	v_mul_f64 v[22:23], v[82:83], v[90:91]
	v_mul_f64 v[92:93], v[86:87], v[48:49]
	;; [unrolled: 1-line block ×3, first 2 shown]
	buffer_load_dword v32, off, s[52:55], 0 offset:48 ; 4-byte Folded Reload
	buffer_load_dword v33, off, s[52:55], 0 offset:52 ; 4-byte Folded Reload
	;; [unrolled: 1-line block ×4, first 2 shown]
	s_waitcnt lgkmcnt(4)
	v_mul_f64 v[98:99], v[70:71], v[46:47]
	buffer_load_dword v24, off, s[52:55], 0 offset:32 ; 4-byte Folded Reload
	buffer_load_dword v25, off, s[52:55], 0 offset:36 ; 4-byte Folded Reload
	;; [unrolled: 1-line block ×4, first 2 shown]
	v_mul_f64 v[96:97], v[74:75], v[42:43]
	v_fma_f64 v[86:87], v[84:85], v[48:49], v[20:21]
	v_fma_f64 v[82:83], v[80:81], v[88:89], v[22:23]
	v_fma_f64 v[84:85], v[84:85], v[50:51], -v[92:93]
	v_fma_f64 v[50:51], v[80:81], v[90:91], -v[94:95]
	v_mul_f64 v[22:23], v[74:75], v[40:41]
	s_waitcnt lgkmcnt(3)
	v_mul_f64 v[90:91], v[78:79], v[30:31]
	v_mul_f64 v[92:93], v[70:71], v[44:45]
	v_fma_f64 v[48:49], v[68:69], v[44:45], v[98:99]
	v_fma_f64 v[88:89], v[72:73], v[40:41], v[96:97]
	s_waitcnt lgkmcnt(2)
	v_mul_f64 v[94:95], v[58:59], v[18:19]
	s_mov_b32 s18, 0x4bc48dbf
	s_mov_b32 s19, 0xbfcea1e5
	v_fma_f64 v[42:43], v[72:73], v[42:43], -v[22:23]
	v_fma_f64 v[44:45], v[76:77], v[28:29], v[90:91]
	v_mul_f64 v[72:73], v[78:79], v[28:29]
	s_waitcnt lgkmcnt(0)
	v_mul_f64 v[78:79], v[66:67], v[142:143]
	s_mov_b32 s16, 0x93053d00
	v_fma_f64 v[28:29], v[56:57], v[16:17], v[94:95]
	s_mov_b32 s21, 0x3fddbe06
	s_mov_b32 s20, 0x4267c47c
	s_mov_b32 s17, 0xbfef11f4
	s_mov_b32 s22, 0xe00740e9
	s_mov_b32 s23, 0x3fec55a7
	s_mov_b32 s26, 0x24c2f84
	s_mov_b32 s27, 0xbfe5384d
	s_mov_b32 s40, 0x42a4c3d2
	s_mov_b32 s24, 0xd0032e0c
	s_mov_b32 s41, 0x3fea55e2
	s_mov_b32 s25, 0xbfe7f3cc
	s_mov_b32 s34, 0x1ea71119
	s_mov_b32 s35, 0x3fe22d96
	v_add_f64 v[74:75], v[88:89], -v[48:49]
	s_mov_b32 s10, 0x2ef20147
	s_mov_b32 s11, 0xbfedeba7
	v_add_f64 v[80:81], v[86:87], -v[82:83]
	s_mov_b32 s30, 0x66966769
	s_mov_b32 s28, 0xb2365da1
	;; [unrolled: 1-line block ×4, first 2 shown]
	v_mul_f64 v[114:115], v[74:75], s[10:11]
	v_add_f64 v[40:41], v[84:85], v[50:51]
	v_add_f64 v[104:105], v[84:85], -v[50:51]
	v_mul_f64 v[112:113], v[80:81], s[30:31]
	s_mov_b32 s8, 0xebaa3ed8
	s_mov_b32 s9, 0x3fbedb7d
	;; [unrolled: 1-line block ×6, first 2 shown]
	v_mul_f64 v[136:137], v[80:81], s[10:11]
	s_mov_b32 s43, 0x3fe5384d
	s_mov_b32 s42, s26
	;; [unrolled: 1-line block ×4, first 2 shown]
	s_waitcnt vmcnt(8)
	v_mul_f64 v[20:21], v[54:55], v[38:39]
	v_mul_f64 v[22:23], v[54:55], v[36:37]
	v_fma_f64 v[70:71], v[52:53], v[36:37], v[20:21]
	v_fma_f64 v[36:37], v[68:69], v[46:47], -v[92:93]
	buffer_load_dword v90, off, s[52:55], 0 offset:16 ; 4-byte Folded Reload
	buffer_load_dword v91, off, s[52:55], 0 offset:20 ; 4-byte Folded Reload
	;; [unrolled: 1-line block ×4, first 2 shown]
	s_waitcnt vmcnt(8)
	v_mul_f64 v[20:21], v[34:35], v[14:15]
	v_fma_f64 v[52:53], v[52:53], v[38:39], -v[22:23]
	v_fma_f64 v[38:39], v[76:77], v[30:31], -v[72:73]
	v_mul_f64 v[76:77], v[62:63], v[146:147]
	v_fma_f64 v[30:31], v[64:65], v[140:141], v[78:79]
	v_add_f64 v[54:55], v[70:71], -v[44:45]
	v_add_f64 v[106:107], v[42:43], -v[36:37]
	v_fma_f64 v[46:47], v[32:33], v[12:13], v[20:21]
	s_waitcnt vmcnt(4)
	v_mul_f64 v[20:21], v[26:27], v[6:7]
	v_mul_f64 v[12:13], v[34:35], v[12:13]
	;; [unrolled: 1-line block ×3, first 2 shown]
	v_add_f64 v[100:101], v[52:53], -v[38:39]
	v_mul_f64 v[132:133], v[54:55], s[44:45]
	v_mul_f64 v[126:127], v[106:107], s[10:11]
	v_add_f64 v[68:69], v[46:47], -v[28:29]
	v_fma_f64 v[72:73], v[24:25], v[4:5], v[20:21]
	v_mul_f64 v[4:5], v[26:27], v[4:5]
	v_mul_f64 v[20:21], v[66:67], v[140:141]
	v_fma_f64 v[26:27], v[60:61], v[144:145], v[76:77]
	v_fma_f64 v[62:63], v[32:33], v[14:15], -v[12:13]
	v_mul_f64 v[14:15], v[54:55], s[40:41]
	v_mul_f64 v[122:123], v[100:101], s[40:41]
	;; [unrolled: 1-line block ×3, first 2 shown]
	v_add_f64 v[110:111], v[72:73], -v[30:31]
	v_fma_f64 v[76:77], v[24:25], v[6:7], -v[4:5]
	v_mul_f64 v[4:5], v[58:59], v[16:17]
	v_fma_f64 v[16:17], v[60:61], v[146:147], -v[34:35]
	v_add_f64 v[78:79], v[72:73], v[30:31]
	v_mul_f64 v[148:149], v[100:101], s[38:39]
	v_add_f64 v[72:73], v[0:1], v[72:73]
	v_mul_f64 v[6:7], v[110:111], s[18:19]
	v_fma_f64 v[18:19], v[56:57], v[18:19], -v[4:5]
	v_add_f64 v[56:57], v[42:43], v[36:37]
	v_add_f64 v[32:33], v[62:63], v[18:19]
	v_add_f64 v[94:95], v[62:63], -v[18:19]
	v_fma_f64 v[116:117], v[56:57], s[28:29], v[114:115]
	v_fma_f64 v[114:115], v[56:57], s[28:29], -v[114:115]
	v_mul_f64 v[118:119], v[94:95], s[26:27]
	s_waitcnt vmcnt(0)
	v_mul_f64 v[22:23], v[92:93], v[10:11]
	v_fma_f64 v[66:67], v[90:91], v[8:9], v[22:23]
	v_mul_f64 v[8:9], v[92:93], v[8:9]
	v_fma_f64 v[22:23], v[64:65], v[142:143], -v[20:21]
	v_add_f64 v[20:21], v[52:53], v[38:39]
	v_mul_f64 v[142:143], v[106:107], s[20:21]
	v_add_f64 v[108:109], v[66:67], -v[26:27]
	v_fma_f64 v[58:59], v[90:91], v[10:11], -v[8:9]
	v_add_f64 v[34:35], v[76:77], v[22:23]
	v_add_f64 v[92:93], v[76:77], -v[22:23]
	v_mul_f64 v[10:11], v[68:69], s[26:27]
	v_add_f64 v[64:65], v[66:67], v[26:27]
	v_fma_f64 v[96:97], v[20:21], s[34:35], v[14:15]
	v_fma_f64 v[14:15], v[20:21], s[34:35], -v[14:15]
	v_mul_f64 v[4:5], v[108:109], s[20:21]
	v_add_f64 v[24:25], v[58:59], v[16:17]
	v_fma_f64 v[8:9], v[34:35], s[16:17], v[6:7]
	v_add_f64 v[90:91], v[58:59], -v[16:17]
	v_fma_f64 v[60:61], v[32:33], s[24:25], v[10:11]
	v_fma_f64 v[6:7], v[34:35], s[16:17], -v[6:7]
	v_fma_f64 v[10:11], v[32:33], s[24:25], -v[10:11]
	v_add_f64 v[76:77], v[2:3], v[76:77]
	v_add_f64 v[66:67], v[72:73], v[66:67]
	v_fma_f64 v[12:13], v[24:25], s[22:23], v[4:5]
	v_add_f64 v[8:9], v[2:3], v[8:9]
	v_mul_f64 v[98:99], v[90:91], s[20:21]
	v_fma_f64 v[4:5], v[24:25], s[22:23], -v[4:5]
	v_add_f64 v[6:7], v[2:3], v[6:7]
	v_add_f64 v[58:59], v[76:77], v[58:59]
	;; [unrolled: 1-line block ×3, first 2 shown]
	v_mul_f64 v[12:13], v[92:93], s[18:19]
	v_fma_f64 v[120:121], v[64:65], s[22:23], -v[98:99]
	v_fma_f64 v[130:131], v[64:65], s[22:23], v[98:99]
	v_add_f64 v[4:5], v[4:5], v[6:7]
	v_add_f64 v[98:99], v[86:87], v[82:83]
	;; [unrolled: 1-line block ×4, first 2 shown]
	v_fma_f64 v[102:103], v[78:79], s[16:17], -v[12:13]
	v_add_f64 v[60:61], v[46:47], v[28:29]
	v_fma_f64 v[12:13], v[78:79], s[16:17], v[12:13]
	v_add_f64 v[4:5], v[10:11], v[4:5]
	v_fma_f64 v[10:11], v[40:41], s[8:9], v[112:113]
	v_fma_f64 v[112:113], v[40:41], s[8:9], -v[112:113]
	v_add_f64 v[46:47], v[66:67], v[46:47]
	v_add_f64 v[8:9], v[96:97], v[8:9]
	;; [unrolled: 1-line block ×4, first 2 shown]
	v_fma_f64 v[124:125], v[60:61], s[24:25], -v[118:119]
	v_add_f64 v[12:13], v[0:1], v[12:13]
	v_fma_f64 v[118:119], v[60:61], s[24:25], v[118:119]
	v_add_f64 v[14:15], v[14:15], v[4:5]
	v_add_f64 v[52:53], v[58:59], v[52:53]
	;; [unrolled: 1-line block ×5, first 2 shown]
	v_fma_f64 v[128:129], v[96:97], s[34:35], -v[122:123]
	v_add_f64 v[12:13], v[130:131], v[12:13]
	v_fma_f64 v[122:123], v[96:97], s[34:35], v[122:123]
	v_add_f64 v[14:15], v[114:115], v[14:15]
	v_mul_f64 v[114:115], v[92:93], s[26:27]
	v_fma_f64 v[144:145], v[96:97], s[16:17], -v[138:139]
	v_add_f64 v[120:121], v[124:125], v[120:121]
	v_mul_f64 v[124:125], v[104:105], s[30:31]
	v_fma_f64 v[6:7], v[102:103], s[28:29], -v[126:127]
	v_add_f64 v[12:13], v[118:119], v[12:13]
	v_fma_f64 v[152:153], v[96:97], s[8:9], -v[148:149]
	v_add_f64 v[14:15], v[112:113], v[14:15]
	v_fma_f64 v[112:113], v[96:97], s[16:17], v[138:139]
	v_add_f64 v[58:59], v[46:47], v[70:71]
	v_add_f64 v[120:121], v[128:129], v[120:121]
	v_fma_f64 v[116:117], v[98:99], s[8:9], -v[124:125]
	v_mul_f64 v[128:129], v[94:95], s[36:37]
	v_add_f64 v[12:13], v[122:123], v[12:13]
	v_fma_f64 v[122:123], v[78:79], s[24:25], -v[114:115]
	v_fma_f64 v[114:115], v[78:79], s[24:25], v[114:115]
	v_add_f64 v[42:43], v[52:53], v[42:43]
	v_add_f64 v[52:53], v[58:59], v[88:89]
	v_add_f64 v[118:119], v[6:7], v[120:121]
	v_add_f64 v[6:7], v[10:11], v[8:9]
	v_mul_f64 v[10:11], v[110:111], s[26:27]
	v_fma_f64 v[8:9], v[102:103], s[28:29], v[126:127]
	v_add_f64 v[122:123], v[0:1], v[122:123]
	v_fma_f64 v[140:141], v[60:61], s[34:35], -v[128:129]
	v_add_f64 v[114:115], v[0:1], v[114:115]
	v_fma_f64 v[128:129], v[60:61], s[34:35], v[128:129]
	v_add_f64 v[4:5], v[116:117], v[118:119]
	v_mul_f64 v[118:119], v[108:109], s[30:31]
	v_fma_f64 v[120:121], v[34:35], s[24:25], v[10:11]
	v_fma_f64 v[116:117], v[98:99], s[8:9], v[124:125]
	v_add_f64 v[8:9], v[8:9], v[12:13]
	v_mul_f64 v[12:13], v[90:91], s[30:31]
	v_mul_f64 v[124:125], v[68:69], s[36:37]
	v_fma_f64 v[10:11], v[34:35], s[24:25], -v[10:11]
	v_add_f64 v[42:43], v[42:43], v[84:85]
	v_fma_f64 v[126:127], v[24:25], s[8:9], v[118:119]
	v_add_f64 v[120:121], v[2:3], v[120:121]
	v_fma_f64 v[118:119], v[24:25], s[8:9], -v[118:119]
	v_add_f64 v[52:53], v[52:53], v[86:87]
	v_fma_f64 v[130:131], v[64:65], s[8:9], -v[12:13]
	v_fma_f64 v[134:135], v[32:33], s[34:35], v[124:125]
	v_add_f64 v[10:11], v[2:3], v[10:11]
	v_fma_f64 v[12:13], v[64:65], s[8:9], v[12:13]
	v_fma_f64 v[124:125], v[32:33], s[34:35], -v[124:125]
	v_add_f64 v[120:121], v[126:127], v[120:121]
	v_mul_f64 v[126:127], v[74:75], s[20:21]
	v_add_f64 v[42:43], v[42:43], v[50:51]
	v_add_f64 v[122:123], v[130:131], v[122:123]
	v_fma_f64 v[130:131], v[20:21], s[16:17], v[132:133]
	v_add_f64 v[10:11], v[118:119], v[10:11]
	v_fma_f64 v[118:119], v[40:41], s[28:29], v[136:137]
	v_add_f64 v[12:13], v[12:13], v[114:115]
	v_add_f64 v[120:121], v[134:135], v[120:121]
	v_fma_f64 v[134:135], v[56:57], s[22:23], v[126:127]
	v_fma_f64 v[132:133], v[20:21], s[16:17], -v[132:133]
	v_add_f64 v[122:123], v[140:141], v[122:123]
	v_fma_f64 v[140:141], v[102:103], s[22:23], -v[142:143]
	v_add_f64 v[124:125], v[124:125], v[10:11]
	v_add_f64 v[50:51], v[52:53], v[82:83]
	;; [unrolled: 1-line block ×4, first 2 shown]
	v_mul_f64 v[130:131], v[104:105], s[10:11]
	v_add_f64 v[12:13], v[116:117], v[8:9]
	v_add_f64 v[122:123], v[144:145], v[122:123]
	v_mul_f64 v[144:145], v[74:75], s[44:45]
	v_add_f64 v[116:117], v[132:133], v[124:125]
	v_mul_f64 v[132:133], v[90:91], s[42:43]
	v_add_f64 v[112:113], v[112:113], v[128:129]
	v_add_f64 v[114:115], v[134:135], v[120:121]
	v_fma_f64 v[120:121], v[98:99], s[28:29], -v[130:131]
	v_fma_f64 v[124:125], v[40:41], s[28:29], -v[136:137]
	v_add_f64 v[122:123], v[140:141], v[122:123]
	v_mul_f64 v[140:141], v[94:95], s[20:21]
	v_mul_f64 v[136:137], v[54:55], s[38:39]
	;; [unrolled: 1-line block ×3, first 2 shown]
	v_add_f64 v[36:37], v[42:43], v[36:37]
	v_add_f64 v[10:11], v[118:119], v[114:115]
	v_fma_f64 v[114:115], v[56:57], s[22:23], -v[126:127]
	v_mul_f64 v[118:119], v[110:111], s[10:11]
	v_mul_f64 v[126:127], v[92:93], s[10:11]
	v_add_f64 v[8:9], v[120:121], v[122:123]
	v_fma_f64 v[120:121], v[102:103], s[22:23], v[142:143]
	v_mul_f64 v[122:123], v[108:109], s[42:43]
	v_fma_f64 v[142:143], v[64:65], s[24:25], -v[132:133]
	v_fma_f64 v[150:151], v[60:61], s[22:23], -v[140:141]
	v_add_f64 v[114:115], v[114:115], v[116:117]
	v_fma_f64 v[128:129], v[34:35], s[28:29], v[118:119]
	v_fma_f64 v[134:135], v[78:79], s[28:29], -v[126:127]
	v_fma_f64 v[116:117], v[98:99], s[28:29], v[130:131]
	v_add_f64 v[112:113], v[120:121], v[112:113]
	v_mul_f64 v[120:121], v[68:69], s[20:21]
	v_fma_f64 v[130:131], v[24:25], s[24:25], v[122:123]
	v_fma_f64 v[118:119], v[34:35], s[28:29], -v[118:119]
	v_fma_f64 v[146:147], v[20:21], s[8:9], v[136:137]
	v_add_f64 v[128:129], v[2:3], v[128:129]
	v_add_f64 v[134:135], v[0:1], v[134:135]
	v_fma_f64 v[122:123], v[24:25], s[24:25], -v[122:123]
	v_fma_f64 v[126:127], v[78:79], s[28:29], v[126:127]
	v_fma_f64 v[138:139], v[32:33], s[22:23], v[120:121]
	v_fma_f64 v[120:121], v[32:33], s[22:23], -v[120:121]
	v_add_f64 v[118:119], v[2:3], v[118:119]
	v_fma_f64 v[132:133], v[64:65], s[24:25], v[132:133]
	v_add_f64 v[128:129], v[130:131], v[128:129]
	v_add_f64 v[134:135], v[142:143], v[134:135]
	v_mul_f64 v[142:143], v[106:107], s[44:45]
	v_mul_f64 v[130:131], v[80:81], s[40:41]
	v_add_f64 v[126:127], v[0:1], v[126:127]
	v_fma_f64 v[136:137], v[20:21], s[8:9], -v[136:137]
	v_add_f64 v[118:119], v[122:123], v[118:119]
	v_mul_f64 v[122:123], v[104:105], s[40:41]
	v_add_f64 v[128:129], v[138:139], v[128:129]
	v_add_f64 v[134:135], v[150:151], v[134:135]
	v_fma_f64 v[138:139], v[56:57], s[16:17], v[144:145]
	v_fma_f64 v[150:151], v[40:41], s[34:35], v[130:131]
	v_add_f64 v[126:127], v[132:133], v[126:127]
	v_add_f64 v[112:113], v[116:117], v[112:113]
	v_add_f64 v[118:119], v[120:121], v[118:119]
	v_add_f64 v[114:115], v[124:125], v[114:115]
	v_add_f64 v[128:129], v[146:147], v[128:129]
	v_fma_f64 v[146:147], v[102:103], s[16:17], -v[142:143]
	v_add_f64 v[134:135], v[152:153], v[134:135]
	v_fma_f64 v[124:125], v[56:57], s[16:17], -v[144:145]
	s_mov_b32 s41, 0x3fedeba7
	s_mov_b32 s40, s10
	v_fma_f64 v[130:131], v[40:41], s[34:35], -v[130:131]
	v_add_f64 v[42:43], v[50:51], v[48:49]
	v_add_f64 v[120:121], v[138:139], v[128:129]
	v_fma_f64 v[128:129], v[98:99], s[34:35], -v[122:123]
	v_fma_f64 v[138:139], v[60:61], s[22:23], v[140:141]
	v_add_f64 v[132:133], v[146:147], v[134:135]
	v_add_f64 v[134:135], v[136:137], v[118:119]
	v_mul_f64 v[146:147], v[94:95], s[40:41]
	v_fma_f64 v[48:49], v[60:61], s[8:9], -v[86:87]
	v_add_f64 v[36:37], v[36:37], v[38:39]
	v_add_f64 v[118:119], v[150:151], v[120:121]
	v_fma_f64 v[120:121], v[96:97], s[8:9], v[148:149]
	v_add_f64 v[126:127], v[138:139], v[126:127]
	v_add_f64 v[116:117], v[128:129], v[132:133]
	v_mul_f64 v[128:129], v[110:111], s[38:39]
	v_mul_f64 v[132:133], v[92:93], s[38:39]
	v_add_f64 v[124:125], v[124:125], v[134:135]
	v_fma_f64 v[134:135], v[98:99], s[34:35], v[122:123]
	v_fma_f64 v[122:123], v[102:103], s[16:17], v[142:143]
	v_mul_f64 v[138:139], v[90:91], s[18:19]
	v_add_f64 v[120:121], v[120:121], v[126:127]
	v_mul_f64 v[126:127], v[108:109], s[18:19]
	v_fma_f64 v[136:137], v[34:35], s[8:9], v[128:129]
	v_fma_f64 v[140:141], v[78:79], s[8:9], -v[132:133]
	v_mul_f64 v[142:143], v[68:69], s[40:41]
	v_fma_f64 v[128:129], v[34:35], s[8:9], -v[128:129]
	v_mul_f64 v[150:151], v[54:55], s[20:21]
	v_fma_f64 v[148:149], v[64:65], s[16:17], -v[138:139]
	v_fma_f64 v[154:155], v[60:61], s[28:29], -v[146:147]
	v_fma_f64 v[144:145], v[24:25], s[16:17], v[126:127]
	v_add_f64 v[136:137], v[2:3], v[136:137]
	v_add_f64 v[140:141], v[0:1], v[140:141]
	v_fma_f64 v[126:127], v[24:25], s[16:17], -v[126:127]
	v_add_f64 v[128:129], v[2:3], v[128:129]
	v_fma_f64 v[152:153], v[32:33], s[28:29], v[142:143]
	v_fma_f64 v[142:143], v[32:33], s[28:29], -v[142:143]
	v_add_f64 v[120:121], v[122:123], v[120:121]
	v_add_f64 v[122:123], v[130:131], v[124:125]
	v_add_f64 v[136:137], v[144:145], v[136:137]
	v_mul_f64 v[144:145], v[100:101], s[20:21]
	v_add_f64 v[140:141], v[148:149], v[140:141]
	v_mul_f64 v[148:149], v[74:75], s[36:37]
	v_add_f64 v[126:127], v[126:127], v[128:129]
	v_fma_f64 v[128:129], v[20:21], s[22:23], v[150:151]
	v_fma_f64 v[150:151], v[20:21], s[22:23], -v[150:151]
	v_add_f64 v[120:121], v[134:135], v[120:121]
	v_add_f64 v[136:137], v[152:153], v[136:137]
	v_mul_f64 v[152:153], v[106:107], s[36:37]
	v_fma_f64 v[156:157], v[96:97], s[22:23], -v[144:145]
	v_add_f64 v[140:141], v[154:155], v[140:141]
	v_mul_f64 v[154:155], v[80:81], s[26:27]
	v_add_f64 v[126:127], v[142:143], v[126:127]
	v_fma_f64 v[142:143], v[56:57], s[34:35], v[148:149]
	v_fma_f64 v[148:149], v[56:57], s[34:35], -v[148:149]
	v_add_f64 v[128:129], v[128:129], v[136:137]
	v_mul_f64 v[136:137], v[104:105], s[26:27]
	v_fma_f64 v[158:159], v[102:103], s[34:35], -v[152:153]
	v_add_f64 v[140:141], v[156:157], v[140:141]
	v_fma_f64 v[132:133], v[78:79], s[8:9], v[132:133]
	v_add_f64 v[126:127], v[150:151], v[126:127]
	v_fma_f64 v[150:151], v[40:41], s[24:25], v[154:155]
	v_mul_f64 v[134:135], v[108:109], s[10:11]
	v_add_f64 v[128:129], v[142:143], v[128:129]
	v_mul_f64 v[142:143], v[110:111], s[36:37]
	v_fma_f64 v[124:125], v[98:99], s[24:25], -v[136:137]
	v_add_f64 v[130:131], v[158:159], v[140:141]
	v_fma_f64 v[140:141], v[40:41], s[24:25], -v[154:155]
	v_add_f64 v[148:149], v[148:149], v[126:127]
	v_fma_f64 v[138:139], v[64:65], s[16:17], v[138:139]
	v_add_f64 v[132:133], v[0:1], v[132:133]
	v_add_f64 v[126:127], v[150:151], v[128:129]
	v_mul_f64 v[128:129], v[92:93], s[36:37]
	v_fma_f64 v[150:151], v[34:35], s[34:35], v[142:143]
	v_add_f64 v[124:125], v[124:125], v[130:131]
	v_mul_f64 v[154:155], v[68:69], s[18:19]
	v_add_f64 v[130:131], v[140:141], v[148:149]
	v_mul_f64 v[140:141], v[90:91], s[10:11]
	v_fma_f64 v[156:157], v[24:25], s[28:29], v[134:135]
	v_fma_f64 v[146:147], v[60:61], s[28:29], v[146:147]
	v_fma_f64 v[148:149], v[78:79], s[34:35], -v[128:129]
	v_add_f64 v[150:151], v[2:3], v[150:151]
	v_add_f64 v[132:133], v[138:139], v[132:133]
	v_mul_f64 v[138:139], v[54:55], s[42:43]
	v_fma_f64 v[162:163], v[32:33], s[16:17], v[154:155]
	v_fma_f64 v[160:161], v[64:65], s[28:29], -v[140:141]
	v_fma_f64 v[144:145], v[96:97], s[22:23], v[144:145]
	v_fma_f64 v[142:143], v[34:35], s[34:35], -v[142:143]
	v_add_f64 v[148:149], v[0:1], v[148:149]
	v_add_f64 v[150:151], v[156:157], v[150:151]
	;; [unrolled: 1-line block ×3, first 2 shown]
	v_fma_f64 v[134:135], v[24:25], s[28:29], -v[134:135]
	v_fma_f64 v[128:129], v[78:79], s[34:35], v[128:129]
	v_mul_f64 v[158:159], v[94:95], s[18:19]
	v_fma_f64 v[154:155], v[32:33], s[16:17], -v[154:155]
	v_add_f64 v[142:143], v[2:3], v[142:143]
	v_add_f64 v[148:149], v[160:161], v[148:149]
	v_fma_f64 v[160:161], v[20:21], s[24:25], v[138:139]
	v_add_f64 v[150:151], v[162:163], v[150:151]
	v_add_f64 v[132:133], v[144:145], v[132:133]
	v_mul_f64 v[144:145], v[80:81], s[20:21]
	v_fma_f64 v[140:141], v[64:65], s[28:29], v[140:141]
	v_add_f64 v[128:129], v[0:1], v[128:129]
	v_add_f64 v[134:135], v[134:135], v[142:143]
	v_mul_f64 v[108:109], v[108:109], s[36:37]
	v_mul_f64 v[90:91], v[90:91], s[36:37]
	v_add_f64 v[150:151], v[160:161], v[150:151]
	v_mul_f64 v[160:161], v[104:105], s[20:21]
	s_mov_b32 s21, 0xbfddbe06
	v_mul_f64 v[110:111], v[110:111], s[20:21]
	v_mul_f64 v[58:59], v[92:93], s[20:21]
	;; [unrolled: 1-line block ×3, first 2 shown]
	v_fma_f64 v[164:165], v[60:61], s[16:17], -v[158:159]
	v_mul_f64 v[146:147], v[74:75], s[30:31]
	v_fma_f64 v[138:139], v[20:21], s[24:25], -v[138:139]
	v_add_f64 v[134:135], v[154:155], v[134:135]
	v_fma_f64 v[154:155], v[60:61], s[16:17], v[158:159]
	v_fma_f64 v[142:143], v[34:35], s[22:23], v[110:111]
	v_fma_f64 v[34:35], v[34:35], s[22:23], -v[110:111]
	v_fma_f64 v[84:85], v[78:79], s[22:23], v[58:59]
	v_fma_f64 v[58:59], v[78:79], s[22:23], -v[58:59]
	v_add_f64 v[128:129], v[140:141], v[128:129]
	v_mul_f64 v[68:69], v[68:69], s[38:39]
	v_fma_f64 v[140:141], v[24:25], s[34:35], v[108:109]
	v_fma_f64 v[24:25], v[24:25], s[34:35], -v[108:109]
	v_add_f64 v[142:143], v[2:3], v[142:143]
	v_add_f64 v[2:3], v[2:3], v[34:35]
	v_fma_f64 v[34:35], v[64:65], s[34:35], v[90:91]
	v_add_f64 v[52:53], v[0:1], v[84:85]
	v_fma_f64 v[64:65], v[64:65], s[34:35], -v[90:91]
	v_add_f64 v[0:1], v[0:1], v[58:59]
	v_add_f64 v[148:149], v[164:165], v[148:149]
	v_fma_f64 v[164:165], v[56:57], s[8:9], v[146:147]
	v_fma_f64 v[146:147], v[56:57], s[8:9], -v[146:147]
	v_add_f64 v[72:73], v[138:139], v[134:135]
	v_fma_f64 v[76:77], v[96:97], s[24:25], v[156:157]
	v_add_f64 v[128:129], v[154:155], v[128:129]
	v_mul_f64 v[54:55], v[54:55], s[10:11]
	v_fma_f64 v[134:135], v[32:33], s[8:9], v[68:69]
	v_mul_f64 v[92:93], v[100:101], s[10:11]
	v_fma_f64 v[32:33], v[32:33], s[8:9], -v[68:69]
	v_add_f64 v[2:3], v[24:25], v[2:3]
	v_fma_f64 v[24:25], v[60:61], s[8:9], v[86:87]
	v_add_f64 v[34:35], v[34:35], v[52:53]
	v_mul_f64 v[162:163], v[106:107], s[30:31]
	v_add_f64 v[138:139], v[140:141], v[142:143]
	v_add_f64 v[0:1], v[64:65], v[0:1]
	;; [unrolled: 1-line block ×5, first 2 shown]
	v_mul_f64 v[74:75], v[74:75], s[26:27]
	v_fma_f64 v[76:77], v[20:21], s[28:29], v[54:55]
	v_mul_f64 v[88:89], v[106:107], s[26:27]
	v_fma_f64 v[20:21], v[20:21], s[28:29], -v[54:55]
	v_add_f64 v[2:3], v[32:33], v[2:3]
	v_fma_f64 v[32:33], v[96:97], s[28:29], v[92:93]
	v_add_f64 v[24:25], v[24:25], v[34:35]
	v_fma_f64 v[152:153], v[102:103], s[34:35], v[152:153]
	v_fma_f64 v[166:167], v[96:97], s[24:25], -v[156:157]
	v_fma_f64 v[66:67], v[102:103], s[8:9], v[162:163]
	v_add_f64 v[128:129], v[134:135], v[138:139]
	v_fma_f64 v[34:35], v[96:97], s[28:29], -v[92:93]
	v_add_f64 v[0:1], v[48:49], v[0:1]
	v_add_f64 v[18:19], v[36:37], v[18:19]
	;; [unrolled: 1-line block ×3, first 2 shown]
	v_mul_f64 v[70:71], v[80:81], s[18:19]
	v_mul_f64 v[80:81], v[104:105], s[18:19]
	v_fma_f64 v[42:43], v[56:57], s[24:25], -v[74:75]
	v_add_f64 v[2:3], v[20:21], v[2:3]
	v_fma_f64 v[20:21], v[102:103], s[24:25], v[88:89]
	v_add_f64 v[24:25], v[32:33], v[24:25]
	v_add_f64 v[132:133], v[152:153], v[132:133]
	v_fma_f64 v[152:153], v[40:41], s[22:23], v[144:145]
	v_fma_f64 v[144:145], v[40:41], s[22:23], -v[144:145]
	v_fma_f64 v[168:169], v[102:103], s[8:9], -v[162:163]
	v_add_f64 v[148:149], v[166:167], v[148:149]
	v_add_f64 v[66:67], v[66:67], v[72:73]
	v_fma_f64 v[72:73], v[56:57], s[24:25], v[74:75]
	v_add_f64 v[76:77], v[76:77], v[128:129]
	v_fma_f64 v[32:33], v[102:103], s[24:25], -v[88:89]
	v_add_f64 v[0:1], v[34:35], v[0:1]
	v_add_f64 v[16:17], v[18:19], v[16:17]
	;; [unrolled: 1-line block ×3, first 2 shown]
	v_fma_f64 v[34:35], v[40:41], s[16:17], -v[70:71]
	v_add_f64 v[2:3], v[42:43], v[2:3]
	v_fma_f64 v[36:37], v[98:99], s[16:17], v[80:81]
	v_add_f64 v[20:21], v[20:21], v[24:25]
	v_add_f64 v[46:47], v[144:145], v[62:63]
	v_fma_f64 v[62:63], v[98:99], s[22:23], v[160:161]
	v_fma_f64 v[136:137], v[98:99], s[24:25], v[136:137]
	v_add_f64 v[150:151], v[164:165], v[150:151]
	v_fma_f64 v[164:165], v[98:99], s[22:23], -v[160:161]
	v_add_f64 v[148:149], v[168:169], v[148:149]
	v_fma_f64 v[24:25], v[40:41], s[16:17], v[70:71]
	v_add_f64 v[28:29], v[72:73], v[76:77]
	v_fma_f64 v[38:39], v[98:99], s[16:17], -v[80:81]
	v_add_f64 v[32:33], v[32:33], v[0:1]
	v_add_f64 v[18:19], v[16:17], v[22:23]
	;; [unrolled: 1-line block ×11, first 2 shown]
	ds_write_b128 v255, v[16:19]
	ds_write_b128 v255, v[0:3] offset:2288
	ds_write_b128 v255, v[44:47] offset:4576
	ds_write_b128 v255, v[128:131] offset:6864
	ds_write_b128 v255, v[120:123] offset:9152
	ds_write_b128 v255, v[112:115] offset:11440
	ds_write_b128 v255, v[12:15] offset:13728
	ds_write_b128 v255, v[4:7] offset:16016
	ds_write_b128 v255, v[8:11] offset:18304
	ds_write_b128 v255, v[116:119] offset:20592
	ds_write_b128 v255, v[124:127] offset:22880
	ds_write_b128 v255, v[20:23] offset:25168
	ds_write_b128 v255, v[24:27] offset:27456
.LBB0_21:
	s_or_b64 exec, exec, s[2:3]
	s_waitcnt lgkmcnt(0)
	s_barrier
	s_and_b64 exec, exec, s[0:1]
	s_cbranch_execz .LBB0_23
; %bb.22:
	v_mov_b32_e32 v1, s15
	v_add_co_u32_e32 v0, vcc, s14, v255
	v_addc_co_u32_e32 v1, vcc, 0, v1, vcc
	s_movk_i32 s0, 0x1000
	v_add_co_u32_e32 v18, vcc, s0, v0
	v_addc_co_u32_e32 v19, vcc, 0, v1, vcc
	global_load_dwordx4 v[2:5], v255, s[14:15]
	global_load_dwordx4 v[6:9], v255, s[14:15] offset:2288
	global_load_dwordx4 v[10:13], v[18:19], off offset:480
	global_load_dwordx4 v[14:17], v[18:19], off offset:2768
	s_nop 0
	buffer_load_dword v18, off, s[52:55], 0 ; 4-byte Folded Reload
	buffer_load_dword v19, off, s[52:55], 0 offset:4 ; 4-byte Folded Reload
	v_mad_u64_u32 v[64:65], s[2:3], s4, v203, 0
	s_movk_i32 s2, 0x2000
	v_add_co_u32_e32 v42, vcc, s2, v0
	v_addc_co_u32_e32 v43, vcc, 0, v1, vcc
	s_mul_i32 s2, s4, 0x8f0
	s_mul_i32 s3, s5, 0x8f0
	s_movk_i32 s8, 0x4000
	s_movk_i32 s9, 0x5000
	v_mov_b32_e32 v73, s13
	s_waitcnt vmcnt(1)
	v_mov_b32_e32 v56, v18
	global_load_dwordx4 v[18:21], v[42:43], off offset:960
	ds_read_b128 v[22:25], v255
	ds_read_b128 v[26:29], v255 offset:2288
	ds_read_b128 v[30:33], v255 offset:4576
	;; [unrolled: 1-line block ×3, first 2 shown]
	global_load_dwordx4 v[42:45], v[42:43], off offset:3248
	v_mad_u64_u32 v[62:63], s[0:1], s6, v56, 0
	s_mul_hi_u32 s6, s4, 0x8f0
	s_movk_i32 s4, 0x3000
	v_add_co_u32_e32 v54, vcc, s4, v0
	v_addc_co_u32_e32 v55, vcc, 0, v1, vcc
	ds_read_b128 v[38:41], v255 offset:27456
	global_load_dwordx4 v[46:49], v[54:55], off offset:1440
	global_load_dwordx4 v[50:53], v[54:55], off offset:3728
	v_mov_b32_e32 v54, v63
	v_mov_b32_e32 v55, v65
	s_add_i32 s3, s6, s3
	v_mad_u64_u32 v[70:71], s[6:7], s7, v56, v[54:55]
	v_add_co_u32_e32 v66, vcc, s8, v0
	v_addc_co_u32_e32 v67, vcc, 0, v1, vcc
	v_mad_u64_u32 v[71:72], s[4:5], s5, v203, v[55:56]
	v_mov_b32_e32 v63, v70
	v_add_co_u32_e32 v68, vcc, s9, v0
	v_lshlrev_b64 v[62:63], 4, v[62:63]
	v_addc_co_u32_e32 v69, vcc, 0, v1, vcc
	v_add_co_u32_e32 v70, vcc, s12, v62
	v_mov_b32_e32 v65, v71
	v_addc_co_u32_e32 v71, vcc, v73, v63, vcc
	s_waitcnt lgkmcnt(4)
	v_mul_f64 v[62:63], v[24:25], v[4:5]
	v_mul_f64 v[4:5], v[22:23], v[4:5]
	global_load_dwordx4 v[54:57], v[66:67], off offset:1920
	global_load_dwordx4 v[58:61], v[68:69], off offset:112
	s_waitcnt lgkmcnt(3)
	v_mul_f64 v[66:67], v[28:29], v[8:9]
	v_mul_f64 v[8:9], v[26:27], v[8:9]
	v_lshlrev_b64 v[64:65], 4, v[64:65]
	s_mov_b32 s0, 0x2ab08acf
	v_add_co_u32_e32 v64, vcc, v70, v64
	v_fma_f64 v[22:23], v[22:23], v[2:3], v[62:63]
	v_fma_f64 v[4:5], v[2:3], v[24:25], -v[4:5]
	v_addc_co_u32_e32 v65, vcc, v71, v65, vcc
	s_waitcnt lgkmcnt(2)
	v_mul_f64 v[70:71], v[32:33], v[12:13]
	v_fma_f64 v[24:25], v[26:27], v[6:7], v[66:67]
	v_fma_f64 v[8:9], v[6:7], v[28:29], -v[8:9]
	s_waitcnt lgkmcnt(1)
	v_mul_f64 v[26:27], v[36:37], v[16:17]
	v_mul_f64 v[16:17], v[34:35], v[16:17]
	s_mov_b32 s1, 0x3f41a06e
	v_mul_f64 v[2:3], v[22:23], s[0:1]
	v_mul_f64 v[4:5], v[4:5], s[0:1]
	v_mul_f64 v[12:13], v[30:31], v[12:13]
	v_fma_f64 v[28:29], v[30:31], v[10:11], v[70:71]
	v_mul_f64 v[6:7], v[24:25], s[0:1]
	v_mul_f64 v[8:9], v[8:9], s[0:1]
	v_fma_f64 v[26:27], v[34:35], v[14:15], v[26:27]
	v_fma_f64 v[30:31], v[14:15], v[36:37], -v[16:17]
	ds_read_b128 v[14:17], v255 offset:9152
	v_mov_b32_e32 v74, s3
	v_add_co_u32_e32 v24, vcc, s2, v64
	v_addc_co_u32_e32 v25, vcc, v65, v74, vcc
	s_movk_i32 s4, 0x6000
	global_store_dwordx4 v[64:65], v[2:5], off
	global_store_dwordx4 v[24:25], v[6:9], off
	v_add_co_u32_e32 v34, vcc, s4, v0
	v_fma_f64 v[12:13], v[10:11], v[32:33], -v[12:13]
	v_mul_f64 v[10:11], v[28:29], s[0:1]
	ds_read_b128 v[2:5], v255 offset:11440
	v_addc_co_u32_e32 v35, vcc, 0, v1, vcc
	v_mov_b32_e32 v75, s3
	v_add_co_u32_e32 v0, vcc, s2, v24
	s_waitcnt vmcnt(7) lgkmcnt(1)
	v_mul_f64 v[28:29], v[16:17], v[20:21]
	v_mul_f64 v[32:33], v[14:15], v[20:21]
	global_load_dwordx4 v[6:9], v[68:69], off offset:2400
	global_load_dwordx4 v[20:23], v[34:35], off offset:592
	v_mul_f64 v[12:13], v[12:13], s[0:1]
	v_addc_co_u32_e32 v1, vcc, v25, v75, vcc
	s_waitcnt vmcnt(8) lgkmcnt(0)
	v_mul_f64 v[24:25], v[2:3], v[44:45]
	v_fma_f64 v[14:15], v[14:15], v[18:19], v[28:29]
	v_fma_f64 v[16:17], v[18:19], v[16:17], -v[32:33]
	v_mul_f64 v[18:19], v[4:5], v[44:45]
	global_store_dwordx4 v[0:1], v[10:13], off
	v_fma_f64 v[4:5], v[42:43], v[4:5], -v[24:25]
	v_mul_f64 v[10:11], v[26:27], s[0:1]
	v_mul_f64 v[12:13], v[30:31], s[0:1]
	v_mov_b32_e32 v27, s3
	v_add_co_u32_e32 v26, vcc, s2, v0
	v_addc_co_u32_e32 v27, vcc, v1, v27, vcc
	v_fma_f64 v[18:19], v[2:3], v[42:43], v[18:19]
	ds_read_b128 v[0:3], v255 offset:16016
	global_store_dwordx4 v[26:27], v[10:13], off
	v_mov_b32_e32 v30, s3
	v_mul_f64 v[10:11], v[14:15], s[0:1]
	v_mul_f64 v[12:13], v[16:17], s[0:1]
	ds_read_b128 v[14:17], v255 offset:13728
	v_add_co_u32_e32 v26, vcc, s2, v26
	v_addc_co_u32_e32 v27, vcc, v27, v30, vcc
	s_waitcnt vmcnt(9) lgkmcnt(0)
	v_mul_f64 v[24:25], v[16:17], v[48:49]
	v_mul_f64 v[28:29], v[14:15], v[48:49]
	global_store_dwordx4 v[26:27], v[10:13], off
	v_add_co_u32_e32 v26, vcc, s2, v26
	v_mul_f64 v[10:11], v[18:19], s[0:1]
	v_mul_f64 v[12:13], v[4:5], s[0:1]
	s_waitcnt vmcnt(9)
	v_mul_f64 v[18:19], v[2:3], v[52:53]
	v_fma_f64 v[4:5], v[14:15], v[46:47], v[24:25]
	v_fma_f64 v[14:15], v[46:47], v[16:17], -v[28:29]
	v_mul_f64 v[24:25], v[0:1], v[52:53]
	v_addc_co_u32_e32 v27, vcc, v27, v30, vcc
	global_store_dwordx4 v[26:27], v[10:13], off
	v_add_co_u32_e32 v26, vcc, s2, v26
	v_mul_f64 v[12:13], v[14:15], s[0:1]
	ds_read_b128 v[14:17], v255 offset:18304
	v_mul_f64 v[10:11], v[4:5], s[0:1]
	v_fma_f64 v[4:5], v[0:1], v[50:51], v[18:19]
	v_fma_f64 v[18:19], v[50:51], v[2:3], -v[24:25]
	ds_read_b128 v[0:3], v255 offset:20592
	s_waitcnt vmcnt(9) lgkmcnt(1)
	v_mul_f64 v[24:25], v[16:17], v[56:57]
	v_mul_f64 v[28:29], v[14:15], v[56:57]
	v_addc_co_u32_e32 v27, vcc, v27, v30, vcc
	global_store_dwordx4 v[26:27], v[10:13], off
	s_nop 0
	v_mul_f64 v[10:11], v[4:5], s[0:1]
	v_mul_f64 v[12:13], v[18:19], s[0:1]
	v_fma_f64 v[4:5], v[14:15], v[54:55], v[24:25]
	v_fma_f64 v[14:15], v[54:55], v[16:17], -v[28:29]
	s_waitcnt vmcnt(9) lgkmcnt(0)
	v_mul_f64 v[16:17], v[2:3], v[60:61]
	v_mul_f64 v[18:19], v[0:1], v[60:61]
	v_add_co_u32_e32 v24, vcc, s2, v26
	v_addc_co_u32_e32 v25, vcc, v27, v30, vcc
	global_store_dwordx4 v[24:25], v[10:13], off
	v_mov_b32_e32 v26, s3
	v_mul_f64 v[10:11], v[4:5], s[0:1]
	v_mul_f64 v[12:13], v[14:15], s[0:1]
	v_fma_f64 v[4:5], v[0:1], v[58:59], v[16:17]
	v_fma_f64 v[18:19], v[58:59], v[2:3], -v[18:19]
	ds_read_b128 v[0:3], v255 offset:22880
	ds_read_b128 v[14:17], v255 offset:25168
	v_add_co_u32_e32 v24, vcc, s2, v24
	v_addc_co_u32_e32 v25, vcc, v25, v26, vcc
	s_waitcnt vmcnt(7) lgkmcnt(1)
	v_mul_f64 v[26:27], v[2:3], v[8:9]
	v_mul_f64 v[28:29], v[0:1], v[8:9]
	s_waitcnt vmcnt(6) lgkmcnt(0)
	v_mul_f64 v[30:31], v[16:17], v[22:23]
	v_mul_f64 v[22:23], v[14:15], v[22:23]
	;; [unrolled: 1-line block ×3, first 2 shown]
	global_store_dwordx4 v[24:25], v[10:13], off
	v_fma_f64 v[0:1], v[0:1], v[6:7], v[26:27]
	v_fma_f64 v[2:3], v[6:7], v[2:3], -v[28:29]
	v_fma_f64 v[4:5], v[14:15], v[20:21], v[30:31]
	v_fma_f64 v[6:7], v[20:21], v[16:17], -v[22:23]
	v_mul_f64 v[10:11], v[18:19], s[0:1]
	v_mov_b32_e32 v13, s3
	v_add_co_u32_e32 v12, vcc, s2, v24
	v_mul_f64 v[0:1], v[0:1], s[0:1]
	v_mul_f64 v[2:3], v[2:3], s[0:1]
	;; [unrolled: 1-line block ×4, first 2 shown]
	v_addc_co_u32_e32 v13, vcc, v25, v13, vcc
	global_store_dwordx4 v[12:13], v[8:11], off
	s_nop 0
	v_mov_b32_e32 v9, s3
	v_add_co_u32_e32 v8, vcc, s2, v12
	v_addc_co_u32_e32 v9, vcc, v13, v9, vcc
	global_store_dwordx4 v[8:9], v[0:3], off
	v_add_co_u32_e32 v8, vcc, s2, v8
	v_mov_b32_e32 v0, s3
	v_addc_co_u32_e32 v9, vcc, v9, v0, vcc
	global_store_dwordx4 v[8:9], v[4:7], off
	global_load_dwordx4 v[0:3], v[34:35], off offset:2880
	s_waitcnt vmcnt(0)
	v_mul_f64 v[4:5], v[40:41], v[2:3]
	v_mul_f64 v[2:3], v[38:39], v[2:3]
	v_fma_f64 v[4:5], v[38:39], v[0:1], v[4:5]
	v_fma_f64 v[2:3], v[0:1], v[40:41], -v[2:3]
	v_mul_f64 v[0:1], v[4:5], s[0:1]
	v_mul_f64 v[2:3], v[2:3], s[0:1]
	v_mov_b32_e32 v5, s3
	v_add_co_u32_e32 v4, vcc, s2, v8
	v_addc_co_u32_e32 v5, vcc, v9, v5, vcc
	global_store_dwordx4 v[4:5], v[0:3], off
.LBB0_23:
	s_endpgm
	.section	.rodata,"a",@progbits
	.p2align	6, 0x0
	.amdhsa_kernel bluestein_single_back_len1859_dim1_dp_op_CI_CI
		.amdhsa_group_segment_fixed_size 29744
		.amdhsa_private_segment_fixed_size 356
		.amdhsa_kernarg_size 104
		.amdhsa_user_sgpr_count 6
		.amdhsa_user_sgpr_private_segment_buffer 1
		.amdhsa_user_sgpr_dispatch_ptr 0
		.amdhsa_user_sgpr_queue_ptr 0
		.amdhsa_user_sgpr_kernarg_segment_ptr 1
		.amdhsa_user_sgpr_dispatch_id 0
		.amdhsa_user_sgpr_flat_scratch_init 0
		.amdhsa_user_sgpr_private_segment_size 0
		.amdhsa_uses_dynamic_stack 0
		.amdhsa_system_sgpr_private_segment_wavefront_offset 1
		.amdhsa_system_sgpr_workgroup_id_x 1
		.amdhsa_system_sgpr_workgroup_id_y 0
		.amdhsa_system_sgpr_workgroup_id_z 0
		.amdhsa_system_sgpr_workgroup_info 0
		.amdhsa_system_vgpr_workitem_id 0
		.amdhsa_next_free_vgpr 256
		.amdhsa_next_free_sgpr 56
		.amdhsa_reserve_vcc 1
		.amdhsa_reserve_flat_scratch 0
		.amdhsa_float_round_mode_32 0
		.amdhsa_float_round_mode_16_64 0
		.amdhsa_float_denorm_mode_32 3
		.amdhsa_float_denorm_mode_16_64 3
		.amdhsa_dx10_clamp 1
		.amdhsa_ieee_mode 1
		.amdhsa_fp16_overflow 0
		.amdhsa_exception_fp_ieee_invalid_op 0
		.amdhsa_exception_fp_denorm_src 0
		.amdhsa_exception_fp_ieee_div_zero 0
		.amdhsa_exception_fp_ieee_overflow 0
		.amdhsa_exception_fp_ieee_underflow 0
		.amdhsa_exception_fp_ieee_inexact 0
		.amdhsa_exception_int_div_zero 0
	.end_amdhsa_kernel
	.text
.Lfunc_end0:
	.size	bluestein_single_back_len1859_dim1_dp_op_CI_CI, .Lfunc_end0-bluestein_single_back_len1859_dim1_dp_op_CI_CI
                                        ; -- End function
	.section	.AMDGPU.csdata,"",@progbits
; Kernel info:
; codeLenInByte = 28076
; NumSgprs: 60
; NumVgprs: 256
; ScratchSize: 356
; MemoryBound: 0
; FloatMode: 240
; IeeeMode: 1
; LDSByteSize: 29744 bytes/workgroup (compile time only)
; SGPRBlocks: 7
; VGPRBlocks: 63
; NumSGPRsForWavesPerEU: 60
; NumVGPRsForWavesPerEU: 256
; Occupancy: 1
; WaveLimiterHint : 1
; COMPUTE_PGM_RSRC2:SCRATCH_EN: 1
; COMPUTE_PGM_RSRC2:USER_SGPR: 6
; COMPUTE_PGM_RSRC2:TRAP_HANDLER: 0
; COMPUTE_PGM_RSRC2:TGID_X_EN: 1
; COMPUTE_PGM_RSRC2:TGID_Y_EN: 0
; COMPUTE_PGM_RSRC2:TGID_Z_EN: 0
; COMPUTE_PGM_RSRC2:TIDIG_COMP_CNT: 0
	.type	__hip_cuid_3f3d66e2d949e8af,@object ; @__hip_cuid_3f3d66e2d949e8af
	.section	.bss,"aw",@nobits
	.globl	__hip_cuid_3f3d66e2d949e8af
__hip_cuid_3f3d66e2d949e8af:
	.byte	0                               ; 0x0
	.size	__hip_cuid_3f3d66e2d949e8af, 1

	.ident	"AMD clang version 19.0.0git (https://github.com/RadeonOpenCompute/llvm-project roc-6.4.0 25133 c7fe45cf4b819c5991fe208aaa96edf142730f1d)"
	.section	".note.GNU-stack","",@progbits
	.addrsig
	.addrsig_sym __hip_cuid_3f3d66e2d949e8af
	.amdgpu_metadata
---
amdhsa.kernels:
  - .args:
      - .actual_access:  read_only
        .address_space:  global
        .offset:         0
        .size:           8
        .value_kind:     global_buffer
      - .actual_access:  read_only
        .address_space:  global
        .offset:         8
        .size:           8
        .value_kind:     global_buffer
      - .actual_access:  read_only
        .address_space:  global
        .offset:         16
        .size:           8
        .value_kind:     global_buffer
      - .actual_access:  read_only
        .address_space:  global
        .offset:         24
        .size:           8
        .value_kind:     global_buffer
      - .actual_access:  read_only
        .address_space:  global
        .offset:         32
        .size:           8
        .value_kind:     global_buffer
      - .offset:         40
        .size:           8
        .value_kind:     by_value
      - .address_space:  global
        .offset:         48
        .size:           8
        .value_kind:     global_buffer
      - .address_space:  global
        .offset:         56
        .size:           8
        .value_kind:     global_buffer
      - .address_space:  global
        .offset:         64
        .size:           8
        .value_kind:     global_buffer
      - .address_space:  global
        .offset:         72
        .size:           8
        .value_kind:     global_buffer
      - .offset:         80
        .size:           4
        .value_kind:     by_value
      - .address_space:  global
        .offset:         88
        .size:           8
        .value_kind:     global_buffer
      - .address_space:  global
        .offset:         96
        .size:           8
        .value_kind:     global_buffer
    .group_segment_fixed_size: 29744
    .kernarg_segment_align: 8
    .kernarg_segment_size: 104
    .language:       OpenCL C
    .language_version:
      - 2
      - 0
    .max_flat_workgroup_size: 169
    .name:           bluestein_single_back_len1859_dim1_dp_op_CI_CI
    .private_segment_fixed_size: 356
    .sgpr_count:     60
    .sgpr_spill_count: 0
    .symbol:         bluestein_single_back_len1859_dim1_dp_op_CI_CI.kd
    .uniform_work_group_size: 1
    .uses_dynamic_stack: false
    .vgpr_count:     256
    .vgpr_spill_count: 88
    .wavefront_size: 64
amdhsa.target:   amdgcn-amd-amdhsa--gfx906
amdhsa.version:
  - 1
  - 2
...

	.end_amdgpu_metadata
